;; amdgpu-corpus repo=ROCm/rocFFT kind=compiled arch=gfx950 opt=O3
	.text
	.amdgcn_target "amdgcn-amd-amdhsa--gfx950"
	.amdhsa_code_object_version 6
	.protected	fft_rtc_fwd_len1352_factors_2_13_13_4_wgs_52_tpt_52_halfLds_sp_op_CI_CI_unitstride_sbrr_R2C_dirReg ; -- Begin function fft_rtc_fwd_len1352_factors_2_13_13_4_wgs_52_tpt_52_halfLds_sp_op_CI_CI_unitstride_sbrr_R2C_dirReg
	.globl	fft_rtc_fwd_len1352_factors_2_13_13_4_wgs_52_tpt_52_halfLds_sp_op_CI_CI_unitstride_sbrr_R2C_dirReg
	.p2align	8
	.type	fft_rtc_fwd_len1352_factors_2_13_13_4_wgs_52_tpt_52_halfLds_sp_op_CI_CI_unitstride_sbrr_R2C_dirReg,@function
fft_rtc_fwd_len1352_factors_2_13_13_4_wgs_52_tpt_52_halfLds_sp_op_CI_CI_unitstride_sbrr_R2C_dirReg: ; @fft_rtc_fwd_len1352_factors_2_13_13_4_wgs_52_tpt_52_halfLds_sp_op_CI_CI_unitstride_sbrr_R2C_dirReg
; %bb.0:
	s_load_dwordx4 s[4:7], s[0:1], 0x58
	s_load_dwordx4 s[8:11], s[0:1], 0x0
	;; [unrolled: 1-line block ×3, first 2 shown]
	v_mul_u32_u24_e32 v1, 0x4ed, v0
	v_add_u32_sdwa v6, s2, v1 dst_sel:DWORD dst_unused:UNUSED_PAD src0_sel:DWORD src1_sel:WORD_1
	v_mov_b32_e32 v4, 0
	s_waitcnt lgkmcnt(0)
	v_cmp_lt_u64_e64 s[2:3], s[10:11], 2
	v_mov_b32_e32 v7, v4
	s_and_b64 vcc, exec, s[2:3]
	v_mov_b64_e32 v[2:3], 0
	s_cbranch_vccnz .LBB0_8
; %bb.1:
	s_load_dwordx2 s[2:3], s[0:1], 0x10
	s_add_u32 s16, s14, 8
	s_addc_u32 s17, s15, 0
	s_add_u32 s18, s12, 8
	s_addc_u32 s19, s13, 0
	s_waitcnt lgkmcnt(0)
	s_add_u32 s20, s2, 8
	v_mov_b64_e32 v[2:3], 0
	s_addc_u32 s21, s3, 0
	s_mov_b64 s[22:23], 1
	v_mov_b64_e32 v[36:37], v[2:3]
.LBB0_2:                                ; =>This Inner Loop Header: Depth=1
	s_load_dwordx2 s[24:25], s[20:21], 0x0
                                        ; implicit-def: $vgpr40_vgpr41
	s_waitcnt lgkmcnt(0)
	v_or_b32_e32 v5, s25, v7
	v_cmp_ne_u64_e32 vcc, 0, v[4:5]
	s_and_saveexec_b64 s[2:3], vcc
	s_xor_b64 s[26:27], exec, s[2:3]
	s_cbranch_execz .LBB0_4
; %bb.3:                                ;   in Loop: Header=BB0_2 Depth=1
	v_cvt_f32_u32_e32 v1, s24
	v_cvt_f32_u32_e32 v5, s25
	s_sub_u32 s2, 0, s24
	s_subb_u32 s3, 0, s25
	v_fmac_f32_e32 v1, 0x4f800000, v5
	v_rcp_f32_e32 v1, v1
	s_nop 0
	v_mul_f32_e32 v1, 0x5f7ffffc, v1
	v_mul_f32_e32 v5, 0x2f800000, v1
	v_trunc_f32_e32 v5, v5
	v_fmac_f32_e32 v1, 0xcf800000, v5
	v_cvt_u32_f32_e32 v5, v5
	v_cvt_u32_f32_e32 v1, v1
	v_mul_lo_u32 v8, s2, v5
	v_mul_hi_u32 v10, s2, v1
	v_mul_lo_u32 v9, s3, v1
	v_add_u32_e32 v10, v10, v8
	v_mul_lo_u32 v12, s2, v1
	v_add_u32_e32 v13, v10, v9
	v_mul_hi_u32 v8, v1, v12
	v_mul_hi_u32 v11, v1, v13
	v_mul_lo_u32 v10, v1, v13
	v_mov_b32_e32 v9, v4
	v_lshl_add_u64 v[8:9], v[8:9], 0, v[10:11]
	v_mul_hi_u32 v11, v5, v12
	v_mul_lo_u32 v12, v5, v12
	v_add_co_u32_e32 v8, vcc, v8, v12
	v_mul_hi_u32 v10, v5, v13
	s_nop 0
	v_addc_co_u32_e32 v8, vcc, v9, v11, vcc
	v_mov_b32_e32 v9, v4
	s_nop 0
	v_addc_co_u32_e32 v11, vcc, 0, v10, vcc
	v_mul_lo_u32 v10, v5, v13
	v_lshl_add_u64 v[8:9], v[8:9], 0, v[10:11]
	v_add_co_u32_e32 v1, vcc, v1, v8
	v_mul_lo_u32 v10, s2, v1
	s_nop 0
	v_addc_co_u32_e32 v5, vcc, v5, v9, vcc
	v_mul_lo_u32 v8, s2, v5
	v_mul_hi_u32 v9, s2, v1
	v_add_u32_e32 v8, v9, v8
	v_mul_lo_u32 v9, s3, v1
	v_add_u32_e32 v12, v8, v9
	v_mul_hi_u32 v14, v5, v10
	v_mul_lo_u32 v15, v5, v10
	v_mul_hi_u32 v9, v1, v12
	v_mul_lo_u32 v8, v1, v12
	v_mul_hi_u32 v10, v1, v10
	v_mov_b32_e32 v11, v4
	v_lshl_add_u64 v[8:9], v[10:11], 0, v[8:9]
	v_add_co_u32_e32 v8, vcc, v8, v15
	v_mul_hi_u32 v13, v5, v12
	s_nop 0
	v_addc_co_u32_e32 v8, vcc, v9, v14, vcc
	v_mul_lo_u32 v10, v5, v12
	s_nop 0
	v_addc_co_u32_e32 v11, vcc, 0, v13, vcc
	v_mov_b32_e32 v9, v4
	v_lshl_add_u64 v[8:9], v[8:9], 0, v[10:11]
	v_add_co_u32_e32 v1, vcc, v1, v8
	v_mul_hi_u32 v10, v6, v1
	s_nop 0
	v_addc_co_u32_e32 v5, vcc, v5, v9, vcc
	v_mad_u64_u32 v[8:9], s[2:3], v6, v5, 0
	v_mov_b32_e32 v11, v4
	v_lshl_add_u64 v[8:9], v[10:11], 0, v[8:9]
	v_mad_u64_u32 v[12:13], s[2:3], v7, v1, 0
	v_add_co_u32_e32 v1, vcc, v8, v12
	v_mad_u64_u32 v[10:11], s[2:3], v7, v5, 0
	s_nop 0
	v_addc_co_u32_e32 v8, vcc, v9, v13, vcc
	v_mov_b32_e32 v9, v4
	s_nop 0
	v_addc_co_u32_e32 v11, vcc, 0, v11, vcc
	v_lshl_add_u64 v[8:9], v[8:9], 0, v[10:11]
	v_mul_lo_u32 v1, s25, v8
	v_mul_lo_u32 v5, s24, v9
	v_mad_u64_u32 v[10:11], s[2:3], s24, v8, 0
	v_add3_u32 v1, v11, v5, v1
	v_sub_u32_e32 v5, v7, v1
	v_mov_b32_e32 v11, s25
	v_sub_co_u32_e32 v14, vcc, v6, v10
	v_lshl_add_u64 v[12:13], v[8:9], 0, 1
	s_nop 0
	v_subb_co_u32_e64 v5, s[2:3], v5, v11, vcc
	v_subrev_co_u32_e64 v10, s[2:3], s24, v14
	v_subb_co_u32_e32 v1, vcc, v7, v1, vcc
	s_nop 0
	v_subbrev_co_u32_e64 v5, s[2:3], 0, v5, s[2:3]
	v_cmp_le_u32_e64 s[2:3], s25, v5
	v_cmp_le_u32_e32 vcc, s25, v1
	s_nop 0
	v_cndmask_b32_e64 v11, 0, -1, s[2:3]
	v_cmp_le_u32_e64 s[2:3], s24, v10
	s_nop 1
	v_cndmask_b32_e64 v10, 0, -1, s[2:3]
	v_cmp_eq_u32_e64 s[2:3], s25, v5
	s_nop 1
	v_cndmask_b32_e64 v5, v11, v10, s[2:3]
	v_lshl_add_u64 v[10:11], v[8:9], 0, 2
	v_cmp_ne_u32_e64 s[2:3], 0, v5
	s_nop 1
	v_cndmask_b32_e64 v5, v13, v11, s[2:3]
	v_cndmask_b32_e64 v11, 0, -1, vcc
	v_cmp_le_u32_e32 vcc, s24, v14
	s_nop 1
	v_cndmask_b32_e64 v13, 0, -1, vcc
	v_cmp_eq_u32_e32 vcc, s25, v1
	s_nop 1
	v_cndmask_b32_e32 v1, v11, v13, vcc
	v_cmp_ne_u32_e32 vcc, 0, v1
	v_cndmask_b32_e64 v1, v12, v10, s[2:3]
	s_nop 0
	v_cndmask_b32_e32 v41, v9, v5, vcc
	v_cndmask_b32_e32 v40, v8, v1, vcc
.LBB0_4:                                ;   in Loop: Header=BB0_2 Depth=1
	s_andn2_saveexec_b64 s[2:3], s[26:27]
	s_cbranch_execz .LBB0_6
; %bb.5:                                ;   in Loop: Header=BB0_2 Depth=1
	v_cvt_f32_u32_e32 v1, s24
	s_sub_i32 s26, 0, s24
	v_mov_b32_e32 v41, v4
	v_rcp_iflag_f32_e32 v1, v1
	s_nop 0
	v_mul_f32_e32 v1, 0x4f7ffffe, v1
	v_cvt_u32_f32_e32 v1, v1
	v_mul_lo_u32 v5, s26, v1
	v_mul_hi_u32 v5, v1, v5
	v_add_u32_e32 v1, v1, v5
	v_mul_hi_u32 v1, v6, v1
	v_mul_lo_u32 v5, v1, s24
	v_sub_u32_e32 v5, v6, v5
	v_add_u32_e32 v8, 1, v1
	v_subrev_u32_e32 v9, s24, v5
	v_cmp_le_u32_e32 vcc, s24, v5
	s_nop 1
	v_cndmask_b32_e32 v5, v5, v9, vcc
	v_cndmask_b32_e32 v1, v1, v8, vcc
	v_add_u32_e32 v8, 1, v1
	v_cmp_le_u32_e32 vcc, s24, v5
	s_nop 1
	v_cndmask_b32_e32 v40, v1, v8, vcc
.LBB0_6:                                ;   in Loop: Header=BB0_2 Depth=1
	s_or_b64 exec, exec, s[2:3]
	v_mad_u64_u32 v[8:9], s[2:3], v40, s24, 0
	s_load_dwordx2 s[2:3], s[18:19], 0x0
	v_mul_lo_u32 v1, v41, s24
	v_mul_lo_u32 v5, v40, s25
	s_load_dwordx2 s[24:25], s[16:17], 0x0
	s_add_u32 s22, s22, 1
	v_add3_u32 v1, v9, v5, v1
	v_sub_co_u32_e32 v5, vcc, v6, v8
	s_addc_u32 s23, s23, 0
	s_nop 0
	v_subb_co_u32_e32 v1, vcc, v7, v1, vcc
	s_add_u32 s16, s16, 8
	s_waitcnt lgkmcnt(0)
	v_mul_lo_u32 v6, s2, v1
	v_mul_lo_u32 v7, s3, v5
	v_mad_u64_u32 v[2:3], s[2:3], s2, v5, v[2:3]
	s_addc_u32 s17, s17, 0
	v_add3_u32 v3, v7, v3, v6
	v_mul_lo_u32 v1, s24, v1
	v_mul_lo_u32 v6, s25, v5
	v_mad_u64_u32 v[36:37], s[2:3], s24, v5, v[36:37]
	s_add_u32 s18, s18, 8
	v_add3_u32 v37, v6, v37, v1
	s_addc_u32 s19, s19, 0
	v_mov_b64_e32 v[6:7], s[10:11]
	s_add_u32 s20, s20, 8
	v_cmp_ge_u64_e32 vcc, s[22:23], v[6:7]
	s_addc_u32 s21, s21, 0
	s_cbranch_vccnz .LBB0_9
; %bb.7:                                ;   in Loop: Header=BB0_2 Depth=1
	v_mov_b64_e32 v[6:7], v[40:41]
	s_branch .LBB0_2
.LBB0_8:
	v_mov_b64_e32 v[36:37], v[2:3]
	v_mov_b64_e32 v[40:41], v[6:7]
.LBB0_9:
	s_load_dwordx2 s[18:19], s[0:1], 0x28
	s_lshl_b64 s[16:17], s[10:11], 3
	s_add_u32 s2, s14, s16
	s_addc_u32 s3, s15, s17
                                        ; implicit-def: $vgpr38
                                        ; implicit-def: $vgpr42
                                        ; implicit-def: $vgpr58
                                        ; implicit-def: $vgpr56
                                        ; implicit-def: $vgpr54
                                        ; implicit-def: $vgpr52
                                        ; implicit-def: $vgpr50
                                        ; implicit-def: $vgpr48
                                        ; implicit-def: $vgpr46
                                        ; implicit-def: $vgpr44
	s_waitcnt lgkmcnt(0)
	v_cmp_gt_u64_e64 s[0:1], s[18:19], v[40:41]
	v_cmp_le_u64_e32 vcc, s[18:19], v[40:41]
	s_and_saveexec_b64 s[10:11], vcc
	s_xor_b64 s[10:11], exec, s[10:11]
	s_cbranch_execz .LBB0_11
; %bb.10:
	s_mov_b32 s14, 0x4ec4ec5
	v_mul_hi_u32 v1, v0, s14
	v_mul_u32_u24_e32 v1, 52, v1
	v_sub_u32_e32 v38, v0, v1
	v_add_u32_e32 v42, 52, v38
	v_add_u32_e32 v58, 0x68, v38
	;; [unrolled: 1-line block ×9, first 2 shown]
                                        ; implicit-def: $vgpr0
                                        ; implicit-def: $vgpr2_vgpr3
.LBB0_11:
	s_andn2_saveexec_b64 s[10:11], s[10:11]
	s_cbranch_execz .LBB0_13
; %bb.12:
	s_add_u32 s12, s12, s16
	s_addc_u32 s13, s13, s17
	s_load_dwordx2 s[12:13], s[12:13], 0x0
	s_mov_b32 s14, 0x4ec4ec5
	s_waitcnt lgkmcnt(0)
	v_mul_lo_u32 v1, s13, v40
	v_mul_lo_u32 v6, s12, v41
	v_mad_u64_u32 v[4:5], s[12:13], s12, v40, 0
	v_add3_u32 v5, v5, v6, v1
	v_mul_hi_u32 v1, v0, s14
	v_mul_u32_u24_e32 v1, 52, v1
	v_sub_u32_e32 v38, v0, v1
	v_lshl_add_u64 v[0:1], v[4:5], 3, s[4:5]
	v_lshl_add_u64 v[0:1], v[2:3], 3, v[0:1]
	v_lshlrev_b32_e32 v2, 3, v38
	v_mov_b32_e32 v3, 0
	v_lshl_add_u64 v[4:5], v[0:1], 0, v[2:3]
	s_movk_i32 s4, 0x1000
	v_add_u32_e32 v39, 0, v2
	v_add_co_u32_e32 v22, vcc, s4, v4
	v_or_b32_e32 v2, 0x1a00, v2
	s_nop 0
	v_addc_co_u32_e32 v23, vcc, 0, v5, vcc
	v_lshl_add_u64 v[0:1], v[0:1], 0, v[2:3]
	global_load_dwordx2 v[6:7], v[4:5], off
	global_load_dwordx2 v[8:9], v[4:5], off offset:416
	global_load_dwordx2 v[10:11], v[4:5], off offset:832
	;; [unrolled: 1-line block ×17, first 2 shown]
	global_load_dwordx2 v[66:67], v[0:1], off
	global_load_dwordx2 v[68:69], v[22:23], off offset:3808
	v_add_co_u32_e32 v0, vcc, 0x2000, v4
	v_add_u32_e32 v42, 52, v38
	s_nop 0
	v_addc_co_u32_e32 v1, vcc, 0, v5, vcc
	global_load_dwordx2 v[4:5], v[0:1], off offset:128
	global_load_dwordx2 v[22:23], v[0:1], off offset:544
	;; [unrolled: 1-line block ×6, first 2 shown]
	v_add_u32_e32 v58, 0x68, v38
	v_add_u32_e32 v56, 0x9c, v38
	;; [unrolled: 1-line block ×15, first 2 shown]
	s_waitcnt vmcnt(24)
	ds_write2_b64 v39, v[6:7], v[8:9] offset1:52
	s_waitcnt vmcnt(20)
	ds_write2_b64 v0, v[14:15], v[16:17] offset0:80 offset1:132
	s_waitcnt vmcnt(18)
	ds_write2_b64 v1, v[18:19], v[20:21] offset0:56 offset1:108
	;; [unrolled: 2-line block ×3, first 2 shown]
	ds_write2_b64 v39, v[10:11], v[12:13] offset0:104 offset1:156
	s_waitcnt vmcnt(14)
	ds_write2_b64 v43, v[28:29], v[30:31] offset0:8 offset1:60
	s_waitcnt vmcnt(12)
	;; [unrolled: 2-line block ×8, first 2 shown]
	ds_write2_b64 v51, v[74:75], v[76:77] offset0:96 offset1:148
.LBB0_13:
	s_or_b64 exec, exec, s[10:11]
	v_lshlrev_b32_e32 v39, 3, v38
	v_add_u32_e32 v172, 0, v39
	v_add_u32_e32 v51, 0x1000, v172
	;; [unrolled: 1-line block ×3, first 2 shown]
	s_load_dwordx2 s[4:5], s[2:3], 0x0
	s_waitcnt lgkmcnt(0)
	; wave barrier
	s_waitcnt lgkmcnt(0)
	ds_read2_b64 v[0:3], v51 offset0:112 offset1:164
	ds_read2_b64 v[4:7], v4 offset0:96 offset1:148
	ds_read2_b64 v[8:11], v172 offset1:52
	v_add_u32_e32 v55, 0x800, v172
	v_add_u32_e32 v53, 0x2000, v172
	;; [unrolled: 1-line block ×4, first 2 shown]
	ds_read2_b64 v[12:15], v55 offset0:56 offset1:108
	ds_read2_b64 v[16:19], v53 offset0:16 offset1:68
	;; [unrolled: 1-line block ×4, first 2 shown]
	v_add_u32_e32 v57, 0x1800, v172
	ds_read2_b64 v[28:31], v28 offset0:80 offset1:132
	ds_read2_b64 v[32:35], v32 offset0:88 offset1:140
	;; [unrolled: 1-line block ×6, first 2 shown]
	s_waitcnt lgkmcnt(10)
	v_pk_add_f32 v[2:3], v[8:9], v[2:3] neg_lo:[0,1] neg_hi:[0,1]
	v_add_u32_e32 v49, v172, v39
	v_pk_fma_f32 v[8:9], v[8:9], 2.0, v[2:3] op_sel_hi:[1,0,1] neg_lo:[0,0,1] neg_hi:[0,0,1]
	s_waitcnt lgkmcnt(0)
	; wave barrier
	s_waitcnt lgkmcnt(0)
	ds_write2_b64 v49, v[8:9], v[2:3] offset1:1
	v_pk_add_f32 v[2:3], v[10:11], v[32:33] neg_lo:[0,1] neg_hi:[0,1]
	v_lshl_add_u32 v47, v58, 4, 0
	v_pk_fma_f32 v[8:9], v[10:11], 2.0, v[2:3] op_sel_hi:[1,0,1] neg_lo:[0,0,1] neg_hi:[0,0,1]
	v_lshl_add_u32 v10, v42, 4, 0
	ds_write2_b64 v10, v[8:9], v[2:3] offset1:1
	v_pk_add_f32 v[2:3], v[72:73], v[34:35] neg_lo:[0,1] neg_hi:[0,1]
	v_lshl_add_u32 v10, v56, 4, 0
	v_pk_fma_f32 v[8:9], v[72:73], 2.0, v[2:3] op_sel_hi:[1,0,1] neg_lo:[0,0,1] neg_hi:[0,0,1]
	ds_write2_b64 v47, v[8:9], v[2:3] offset1:1
	v_pk_add_f32 v[2:3], v[74:75], v[68:69] neg_lo:[0,1] neg_hi:[0,1]
	v_lshl_add_u32 v43, v54, 4, 0
	v_pk_fma_f32 v[8:9], v[74:75], 2.0, v[2:3] op_sel_hi:[1,0,1] neg_lo:[0,0,1] neg_hi:[0,0,1]
	;; [unrolled: 4-line block ×4, first 2 shown]
	ds_write2_b64 v10, v[8:9], v[2:3] offset1:1
	v_pk_add_f32 v[2:3], v[12:13], v[66:67] neg_lo:[0,1] neg_hi:[0,1]
	v_add_u32_e32 v28, 0x16c0, v49
	v_pk_fma_f32 v[8:9], v[12:13], 2.0, v[2:3] op_sel_hi:[1,0,1] neg_lo:[0,0,1] neg_hi:[0,0,1]
	ds_write2_b64 v177, v[8:9], v[2:3] offset1:1
	v_pk_add_f32 v[2:3], v[0:1], v[6:7] neg_lo:[0,1] neg_hi:[0,1]
	v_pk_add_f32 v[6:7], v[14:15], v[16:17] neg_lo:[0,1] neg_hi:[0,1]
	v_pk_fma_f32 v[0:1], v[0:1], 2.0, v[2:3] op_sel_hi:[1,0,1] neg_lo:[0,0,1] neg_hi:[0,0,1]
	v_pk_fma_f32 v[8:9], v[14:15], 2.0, v[6:7] op_sel_hi:[1,0,1] neg_lo:[0,0,1] neg_hi:[0,0,1]
	v_pk_add_f32 v[4:5], v[62:63], v[4:5] neg_lo:[0,1] neg_hi:[0,1]
	v_pk_add_f32 v[10:11], v[22:23], v[24:25] neg_lo:[0,1] neg_hi:[0,1]
	;; [unrolled: 1-line block ×4, first 2 shown]
	v_and_b32_e32 v189, 1, v38
	v_lshl_add_u32 v45, v48, 4, 0
	v_pk_fma_f32 v[14:15], v[62:63], 2.0, v[4:5] op_sel_hi:[1,0,1] neg_lo:[0,0,1] neg_hi:[0,0,1]
	v_pk_fma_f32 v[16:17], v[60:61], 2.0, v[12:13] op_sel_hi:[1,0,1] neg_lo:[0,0,1] neg_hi:[0,0,1]
	v_add_u32_e32 v24, 0x1d40, v49
	v_lshl_add_u32 v174, v46, 4, 0
	v_add_u32_e32 v25, 0x23c0, v49
	v_pk_fma_f32 v[22:23], v[22:23], 2.0, v[10:11] op_sel_hi:[1,0,1] neg_lo:[0,0,1] neg_hi:[0,0,1]
	v_pk_fma_f32 v[20:21], v[20:21], 2.0, v[18:19] op_sel_hi:[1,0,1] neg_lo:[0,0,1] neg_hi:[0,0,1]
	v_lshl_add_u32 v173, v44, 4, 0
	ds_write2_b64 v28, v[8:9], v[6:7] offset1:1
	ds_write2_b64 v45, v[20:21], v[18:19] offset1:1
	;; [unrolled: 1-line block ×6, first 2 shown]
	v_mul_u32_u24_e32 v0, 12, v189
	v_lshlrev_b32_e32 v25, 3, v0
	s_waitcnt lgkmcnt(0)
	; wave barrier
	s_waitcnt lgkmcnt(0)
	global_load_dwordx4 v[4:7], v25, s[8:9] offset:80
	global_load_dwordx4 v[0:3], v25, s[8:9] offset:64
	;; [unrolled: 1-line block ×5, first 2 shown]
	ds_read2_b64 v[14:17], v53 offset0:172 offset1:224
	v_lshlrev_b32_e32 v179, 3, v54
	v_lshlrev_b32_e32 v178, 3, v58
	v_sub_u32_e32 v182, v43, v179
	ds_read_b64 v[22:23], v172 offset:10400
	ds_read2_b64 v[18:21], v53 offset0:68 offset1:120
	v_sub_u32_e32 v181, v47, v178
	v_lshl_add_u32 v49, v42, 3, 0
	v_add_u32_e32 v180, 0x1c00, v172
	v_lshlrev_b32_e32 v175, 3, v46
	v_lshlrev_b32_e32 v59, 3, v44
	v_sub_u32_e32 v185, v174, v175
	v_sub_u32_e32 v186, v173, v59
	v_lshlrev_b32_e32 v183, 3, v50
	v_sub_u32_e32 v187, v177, v183
	v_add_u32_e32 v184, 0xc00, v172
	v_lshlrev_b32_e32 v176, 3, v48
	v_sub_u32_e32 v188, v45, v176
	s_mov_b32 s36, 0xbeedf032
	s_mov_b32 s37, 0x3f62ad3f
	;; [unrolled: 1-line block ×48, first 2 shown]
	v_cmp_gt_u32_e32 vcc, 26, v38
	s_movk_i32 s2, 0x4f
	s_waitcnt vmcnt(4) lgkmcnt(2)
	v_pk_mul_f32 v[8:9], v[14:15], v[4:5] op_sel:[0,1]
	v_mov_b32_e32 v24, v7
	v_pk_fma_f32 v[12:13], v[14:15], v[4:5], v[8:9] op_sel:[0,0,1] op_sel_hi:[1,0,0] neg_lo:[0,0,1] neg_hi:[0,0,1]
	v_pk_fma_f32 v[10:11], v[14:15], v[4:5], v[8:9] op_sel:[0,0,1] op_sel_hi:[1,0,0]
	v_pk_mul_f32 v[8:9], v[16:17], v[24:25] op_sel_hi:[1,0]
	s_nop 0
	v_pk_fma_f32 v[80:81], v[16:17], v[6:7], v[8:9] op_sel:[0,0,1] op_sel_hi:[1,0,0] neg_lo:[0,0,1] neg_hi:[0,0,1]
	v_pk_fma_f32 v[78:79], v[16:17], v[6:7], v[8:9] op_sel:[0,0,1] op_sel_hi:[1,0,0]
	ds_read_b64 v[86:87], v182
	ds_read_b64 v[72:73], v181
	;; [unrolled: 1-line block ×3, first 2 shown]
	global_load_dwordx4 v[74:77], v25, s[8:9]
	ds_read2_b64 v[32:35], v180 offset0:92 offset1:144
	s_waitcnt lgkmcnt(5)
	v_pk_mul_f32 v[16:17], v[22:23], v[24:25] op_sel_hi:[1,0]
	ds_read2_b64 v[82:85], v57 offset0:116 offset1:168
	v_pk_fma_f32 v[14:15], v[22:23], v[6:7], v[16:17] op_sel:[0,0,1] op_sel_hi:[1,0,0] neg_lo:[0,0,1] neg_hi:[0,0,1]
	v_pk_fma_f32 v[16:17], v[22:23], v[6:7], v[16:17] op_sel:[0,0,1] op_sel_hi:[1,0,0]
	s_waitcnt lgkmcnt(5)
	v_pk_mul_f32 v[6:7], v[20:21], v[4:5] op_sel:[0,1]
	v_mov_b32_e32 v81, v79
	v_pk_fma_f32 v[88:89], v[20:21], v[4:5], v[6:7] op_sel:[0,0,1] op_sel_hi:[1,0,0] neg_lo:[0,0,1] neg_hi:[0,0,1]
	v_pk_fma_f32 v[90:91], v[20:21], v[4:5], v[6:7] op_sel:[0,0,1] op_sel_hi:[1,0,0]
	s_waitcnt vmcnt(4)
	v_mov_b32_e32 v20, v3
	v_pk_mul_f32 v[6:7], v[18:19], v[20:21] op_sel_hi:[1,0]
	v_mov_b32_e32 v89, v91
	v_pk_fma_f32 v[4:5], v[18:19], v[2:3], v[6:7] op_sel:[0,0,1] op_sel_hi:[1,0,0] neg_lo:[0,0,1] neg_hi:[0,0,1]
	v_pk_fma_f32 v[22:23], v[18:19], v[2:3], v[6:7] op_sel:[0,0,1] op_sel_hi:[1,0,0]
	s_waitcnt lgkmcnt(1)
	v_pk_mul_f32 v[18:19], v[32:33], v[0:1] op_sel:[0,1]
	s_waitcnt vmcnt(3)
	v_mov_b32_e32 v22, v31
	v_pk_fma_f32 v[6:7], v[32:33], v[0:1], v[18:19] op_sel:[0,0,1] op_sel_hi:[1,1,0] neg_lo:[0,0,1] neg_hi:[0,0,1]
	v_pk_fma_f32 v[26:27], v[32:33], v[0:1], v[18:19] op_sel:[0,0,1] op_sel_hi:[1,0,0]
	v_pk_mul_f32 v[18:19], v[34:35], v[20:21] op_sel_hi:[1,0]
	s_waitcnt lgkmcnt(0)
	v_pk_mul_f32 v[20:21], v[82:83], v[22:23] op_sel_hi:[1,0]
	v_pk_fma_f32 v[92:93], v[34:35], v[2:3], v[18:19] op_sel:[0,0,1] op_sel_hi:[1,0,0] neg_lo:[0,0,1] neg_hi:[0,0,1]
	v_pk_fma_f32 v[94:95], v[34:35], v[2:3], v[18:19] op_sel:[0,0,1] op_sel_hi:[1,0,0]
	v_pk_mul_f32 v[2:3], v[84:85], v[0:1] op_sel:[0,1]
	v_pk_fma_f32 v[18:19], v[82:83], v[30:31], v[20:21] op_sel:[0,0,1] op_sel_hi:[1,1,0] neg_lo:[0,0,1] neg_hi:[0,0,1]
	v_pk_fma_f32 v[96:97], v[84:85], v[0:1], v[2:3] op_sel:[0,0,1] op_sel_hi:[1,1,0] neg_lo:[0,0,1] neg_hi:[0,0,1]
	v_pk_fma_f32 v[98:99], v[84:85], v[0:1], v[2:3] op_sel:[0,0,1] op_sel_hi:[1,0,0]
	ds_read2_b64 v[0:3], v57 offset0:12 offset1:64
	v_pk_fma_f32 v[32:33], v[82:83], v[30:31], v[20:21] op_sel:[0,0,1] op_sel_hi:[1,0,0]
	ds_read2_b64 v[82:85], v51 offset0:164 offset1:216
	v_mov_b32_e32 v97, v99
	s_waitcnt lgkmcnt(1)
	v_pk_mul_f32 v[24:25], v[0:1], v[28:29] op_sel:[0,1]
	s_nop 0
	v_pk_fma_f32 v[20:21], v[0:1], v[28:29], v[24:25] op_sel:[0,0,1] op_sel_hi:[1,1,0] neg_lo:[0,0,1] neg_hi:[0,0,1]
	v_pk_fma_f32 v[34:35], v[0:1], v[28:29], v[24:25] op_sel:[0,0,1] op_sel_hi:[1,0,0]
	v_pk_mul_f32 v[0:1], v[2:3], v[22:23] op_sel_hi:[1,0]
	s_waitcnt vmcnt(2)
	v_mov_b32_e32 v22, v65
	v_pk_fma_f32 v[100:101], v[2:3], v[30:31], v[0:1] op_sel:[0,0,1] op_sel_hi:[1,1,0] neg_lo:[0,0,1] neg_hi:[0,0,1]
	v_pk_fma_f32 v[102:103], v[2:3], v[30:31], v[0:1] op_sel:[0,0,1] op_sel_hi:[1,0,0]
	s_waitcnt lgkmcnt(0)
	v_pk_mul_f32 v[0:1], v[84:85], v[28:29] op_sel:[0,1]
	v_mov_b32_e32 v101, v103
	v_pk_fma_f32 v[104:105], v[84:85], v[28:29], v[0:1] op_sel:[0,0,1] op_sel_hi:[1,1,0] neg_lo:[0,0,1] neg_hi:[0,0,1]
	v_pk_fma_f32 v[84:85], v[84:85], v[28:29], v[0:1] op_sel:[0,0,1] op_sel_hi:[1,0,0]
	v_pk_mul_f32 v[0:1], v[82:83], v[22:23] op_sel_hi:[1,0]
	ds_read_b64 v[28:29], v186
	v_pk_fma_f32 v[24:25], v[82:83], v[64:65], v[0:1] op_sel:[0,0,1] op_sel_hi:[1,1,0] neg_lo:[0,0,1] neg_hi:[0,0,1]
	v_pk_fma_f32 v[60:61], v[82:83], v[64:65], v[0:1] op_sel:[0,0,1] op_sel_hi:[1,0,0]
	ds_read_b64 v[30:31], v185
	ds_read_b64 v[82:83], v187
	ds_read2_b64 v[0:3], v184 offset0:84 offset1:188
	ds_read_b64 v[106:107], v188
	v_mov_b32_e32 v105, v85
	s_waitcnt lgkmcnt(3)
	v_pk_mul_f32 v[66:67], v[30:31], v[62:63] op_sel:[0,1]
	v_mov_b32_e32 v84, v92
	v_pk_fma_f32 v[108:109], v[30:31], v[62:63], v[66:67] op_sel:[0,0,1] op_sel_hi:[1,1,0] neg_lo:[0,0,1] neg_hi:[0,0,1]
	v_pk_fma_f32 v[110:111], v[30:31], v[62:63], v[66:67] op_sel:[0,0,1] op_sel_hi:[1,0,0]
	v_pk_mul_f32 v[30:31], v[28:29], v[22:23] op_sel_hi:[1,0]
	s_waitcnt vmcnt(1)
	v_mov_b32_e32 v22, v71
	v_pk_fma_f32 v[116:117], v[28:29], v[64:65], v[30:31] op_sel:[0,0,1] op_sel_hi:[1,1,0] neg_lo:[0,0,1] neg_hi:[0,0,1]
	v_pk_fma_f32 v[112:113], v[28:29], v[64:65], v[30:31] op_sel:[0,0,1] op_sel_hi:[1,0,0]
	s_waitcnt lgkmcnt(1)
	v_pk_mul_f32 v[30:31], v[2:3], v[62:63] op_sel:[0,1]
	v_mov_b32_e32 v109, v111
	v_pk_fma_f32 v[28:29], v[2:3], v[62:63], v[30:31] op_sel:[0,0,1] op_sel_hi:[1,1,0] neg_lo:[0,0,1] neg_hi:[0,0,1]
	v_pk_fma_f32 v[64:65], v[2:3], v[62:63], v[30:31] op_sel:[0,0,1] op_sel_hi:[1,0,0]
	v_pk_mul_f32 v[2:3], v[0:1], v[22:23] op_sel_hi:[1,0]
	s_waitcnt lgkmcnt(0)
	v_pk_mul_f32 v[62:63], v[106:107], v[22:23] op_sel_hi:[1,0]
	v_pk_fma_f32 v[30:31], v[0:1], v[70:71], v[2:3] op_sel:[0,0,1] op_sel_hi:[1,1,0] neg_lo:[0,0,1] neg_hi:[0,0,1]
	v_pk_fma_f32 v[66:67], v[0:1], v[70:71], v[2:3] op_sel:[0,0,1] op_sel_hi:[1,0,0]
	v_mov_b32_e32 v0, v69
	v_pk_mul_f32 v[0:1], v[82:83], v[0:1] op_sel:[1,0] op_sel_hi:[0,1]
	v_pk_fma_f32 v[114:115], v[82:83], v[68:69], v[0:1] neg_lo:[0,0,1] neg_hi:[0,0,1]
	v_pk_mul_f32 v[0:1], v[82:83], v[68:69] op_sel:[1,0] op_sel_hi:[0,1]
	v_mov_b32_e32 v26, v1
	ds_read2_b64 v[0:3], v55 offset0:4 offset1:108
	v_pk_fma_f32 v[118:119], v[106:107], v[70:71], v[62:63] op_sel:[0,0,1] op_sel_hi:[1,1,0] neg_lo:[0,0,1] neg_hi:[0,0,1]
	v_pk_fma_f32 v[106:107], v[106:107], v[70:71], v[62:63] op_sel:[0,0,1] op_sel_hi:[1,0,0]
	v_pk_fma_f32 v[82:83], v[82:83], v[68:69], v[26:27] op_sel:[1,0,0] op_sel_hi:[0,1,1]
	v_mov_b32_e32 v117, v113
	s_waitcnt lgkmcnt(0)
	v_mul_f32_e32 v5, v3, v69
	v_fma_f32 v62, v2, v68, -v5
	v_mul_f32_e32 v63, v2, v69
	s_waitcnt vmcnt(0)
	v_mov_b32_e32 v2, v77
	v_fmac_f32_e32 v63, v3, v68
	v_pk_mul_f32 v[2:3], v[0:1], v[2:3] op_sel:[1,0] op_sel_hi:[0,1]
	v_pk_fma_f32 v[70:71], v[0:1], v[76:77], v[2:3] neg_lo:[0,0,1] neg_hi:[0,0,1]
	v_pk_mul_f32 v[2:3], v[0:1], v[76:77] op_sel:[1,0] op_sel_hi:[0,1]
	v_mov_b32_e32 v2, v3
	v_pk_fma_f32 v[68:69], v[0:1], v[76:77], v[2:3] op_sel:[1,0,0] op_sel_hi:[0,1,1]
	ds_read2_b64 v[0:3], v172 offset1:156
	v_mul_f32_e32 v5, v75, v73
	v_fma_f32 v7, v74, v72, -v5
	v_mul_f32_e32 v19, v75, v72
	v_mov_b32_e32 v22, v75
	v_mul_f32_e32 v5, v77, v87
	v_mul_f32_e32 v121, v77, v86
	v_fmac_f32_e32 v19, v74, v73
	s_waitcnt lgkmcnt(0)
	v_pk_mul_f32 v[72:73], v[2:3], v[22:23]
	v_mov_b32_e32 v22, v3
	v_fma_f32 v120, v76, v86, -v5
	v_fmac_f32_e32 v121, v76, v87
	v_pk_mul_f32 v[76:77], v[2:3], v[74:75]
	v_pk_fma_f32 v[72:73], v[22:23], v[74:75], v[72:73]
	v_mov_b32_e32 v22, v77
	v_pk_fma_f32 v[2:3], v[2:3], v[74:75], v[22:23] neg_lo:[0,0,1] neg_hi:[0,0,1]
	v_mov_b32_e32 v22, v95
	v_add_f32_e32 v77, v121, v91
	v_sub_f32_e32 v76, v121, v91
	v_pk_add_f32 v[110:111], v[114:115], v[92:93]
	v_pk_add_f32 v[90:91], v[114:115], v[92:93] neg_lo:[0,1] neg_hi:[0,1]
	v_mov_b32_e32 v115, v82
	v_mov_b32_e32 v5, v82
	v_pk_add_f32 v[112:113], v[82:83], v[22:23] neg_lo:[0,1] neg_hi:[0,1]
	v_add_f32_e32 v83, v19, v1
	v_add_f32_e32 v82, v7, v0
	v_pk_add_f32 v[82:83], v[82:83], v[120:121]
	v_mov_b32_e32 v119, v107
	v_pk_add_f32 v[82:83], v[82:83], v[114:115]
	v_mov_b32_e32 v85, v95
	v_pk_add_f32 v[82:83], v[82:83], v[118:119]
	v_add_f32_e32 v132, v7, v80
	v_pk_add_f32 v[82:83], v[82:83], v[108:109]
	v_sub_f32_e32 v133, v7, v80
	v_pk_add_f32 v[82:83], v[82:83], v[116:117]
	v_add_f32_e32 v75, v19, v79
	v_pk_add_f32 v[82:83], v[82:83], v[104:105]
	v_sub_f32_e32 v74, v19, v79
	v_pk_add_f32 v[82:83], v[82:83], v[100:101]
	v_pk_add_f32 v[78:79], v[4:5], v[94:95]
	;; [unrolled: 1-line block ×5, first 2 shown]
	v_pk_add_f32 v[94:95], v[118:119], v[96:97] neg_lo:[0,1] neg_hi:[0,1]
	v_pk_add_f32 v[82:83], v[82:83], v[88:89]
	v_add_f32_e32 v124, v120, v88
	v_pk_add_f32 v[118:119], v[82:83], v[80:81]
	v_pk_mul_f32 v[82:83], v[132:133], s[54:55]
	v_sub_f32_e32 v125, v120, v88
	v_pk_fma_f32 v[84:85], v[74:75], s[36:37], v[82:83] neg_lo:[1,0,0] neg_hi:[1,0,0]
	v_pk_fma_f32 v[80:81], v[74:75], s[36:37], v[82:83]
	v_pk_mul_f32 v[86:87], v[124:125], s[24:25]
	v_mov_b32_e32 v85, v81
	v_pk_add_f32 v[88:89], v[84:85], v[0:1]
	v_pk_fma_f32 v[92:93], v[76:77], s[12:13], v[86:87] neg_lo:[1,0,0] neg_hi:[1,0,0]
	v_pk_fma_f32 v[84:85], v[76:77], s[12:13], v[86:87]
	v_mov_b32_e32 v111, v90
	v_mov_b32_e32 v93, v85
	;; [unrolled: 1-line block ×3, first 2 shown]
	v_pk_mul_f32 v[90:91], v[110:111], s[42:43]
	v_pk_add_f32 v[92:93], v[92:93], v[88:89]
	v_pk_fma_f32 v[96:97], v[112:113], s[10:11], v[90:91] neg_lo:[1,0,0] neg_hi:[1,0,0]
	v_pk_fma_f32 v[88:89], v[78:79], s[10:11], v[90:91]
	v_pk_add_f32 v[114:115], v[116:117], v[104:105]
	v_mov_b32_e32 v97, v89
	v_pk_add_f32 v[98:99], v[96:97], v[92:93]
	v_mov_b32_e32 v93, v123
	v_mov_b32_e32 v123, v94
	;; [unrolled: 1-line block ×3, first 2 shown]
	v_pk_mul_f32 v[96:97], v[122:123], s[40:41]
	v_pk_add_f32 v[106:107], v[116:117], v[104:105] neg_lo:[0,1] neg_hi:[0,1]
	v_pk_add_f32 v[116:117], v[108:109], v[100:101]
	v_pk_add_f32 v[102:103], v[108:109], v[100:101] neg_lo:[0,1] neg_hi:[0,1]
	v_pk_fma_f32 v[100:101], v[92:93], s[14:15], v[96:97] neg_lo:[1,0,0] neg_hi:[1,0,0]
	v_pk_fma_f32 v[94:95], v[92:93], s[14:15], v[96:97]
	v_lshrrev_b32_e32 v5, 1, v38
	v_mov_b32_e32 v101, v95
	v_pk_add_f32 v[104:105], v[100:101], v[98:99]
	v_mov_b32_e32 v99, v117
	v_mov_b32_e32 v117, v102
	;; [unrolled: 1-line block ×3, first 2 shown]
	v_pk_mul_f32 v[102:103], v[116:117], s[22:23]
	v_mul_u32_u24_e32 v5, 26, v5
	v_pk_fma_f32 v[108:109], v[98:99], s[16:17], v[102:103] neg_lo:[1,0,0] neg_hi:[1,0,0]
	v_pk_fma_f32 v[100:101], v[98:99], s[16:17], v[102:103]
	v_or_b32_e32 v5, v5, v189
	v_mov_b32_e32 v109, v101
	v_pk_add_f32 v[120:121], v[108:109], v[104:105]
	v_mov_b32_e32 v105, v115
	v_mov_b32_e32 v115, v106
	;; [unrolled: 1-line block ×3, first 2 shown]
	v_pk_mul_f32 v[108:109], v[114:115], s[18:19]
	v_lshl_add_u32 v5, v5, 3, 0
	v_pk_fma_f32 v[126:127], v[104:105], s[20:21], v[108:109] neg_lo:[1,0,0] neg_hi:[1,0,0]
	v_pk_fma_f32 v[106:107], v[104:105], s[20:21], v[108:109]
	s_nop 0
	v_mov_b32_e32 v127, v107
	v_pk_add_f32 v[120:121], v[126:127], v[120:121]
	v_pk_mul_f32 v[126:127], v[132:133], s[24:25]
	; wave barrier
	ds_write2_b64 v5, v[118:119], v[120:121] offset1:2
	v_pk_fma_f32 v[130:131], v[74:75], s[12:13], v[126:127] neg_lo:[1,0,0] neg_hi:[1,0,0]
	v_pk_fma_f32 v[118:119], v[74:75], s[12:13], v[126:127]
	v_pk_mul_f32 v[128:129], v[124:125], s[40:41]
	v_mov_b32_e32 v131, v119
	v_pk_fma_f32 v[134:135], v[76:77], s[14:15], v[128:129] neg_lo:[1,0,0] neg_hi:[1,0,0]
	v_pk_fma_f32 v[120:121], v[76:77], s[14:15], v[128:129]
	v_pk_add_f32 v[130:131], v[130:131], v[0:1]
	v_mov_b32_e32 v135, v121
	v_pk_mul_f32 v[136:137], v[110:111], s[18:19]
	v_pk_add_f32 v[134:135], v[134:135], v[130:131]
	v_pk_fma_f32 v[138:139], v[112:113], s[20:21], v[136:137] neg_lo:[1,0,0] neg_hi:[1,0,0]
	v_pk_fma_f32 v[130:131], v[78:79], s[20:21], v[136:137]
	v_pk_mul_f32 v[140:141], v[122:123], s[46:47]
	v_mov_b32_e32 v139, v131
	v_pk_add_f32 v[138:139], v[138:139], v[134:135]
	v_pk_fma_f32 v[142:143], v[92:93], s[26:27], v[140:141] neg_lo:[1,0,0] neg_hi:[1,0,0]
	v_pk_fma_f32 v[134:135], v[92:93], s[26:27], v[140:141]
	v_pk_mul_f32 v[152:153], v[132:133], s[42:43]
	v_mov_b32_e32 v143, v135
	v_pk_add_f32 v[144:145], v[142:143], v[138:139]
	v_pk_mul_f32 v[142:143], v[116:117], s[44:45]
	v_pk_fma_f32 v[156:157], v[74:75], s[10:11], v[152:153] neg_lo:[1,0,0] neg_hi:[1,0,0]
	v_pk_fma_f32 v[146:147], v[98:99], s[34:35], v[142:143] neg_lo:[1,0,0] neg_hi:[1,0,0]
	v_pk_fma_f32 v[138:139], v[98:99], s[34:35], v[142:143]
	v_pk_mul_f32 v[154:155], v[124:125], s[18:19]
	v_mov_b32_e32 v147, v139
	v_pk_add_f32 v[148:149], v[146:147], v[144:145]
	v_pk_mul_f32 v[146:147], v[114:115], s[38:39]
	v_pk_fma_f32 v[158:159], v[76:77], s[20:21], v[154:155] neg_lo:[1,0,0] neg_hi:[1,0,0]
	v_pk_fma_f32 v[150:151], v[104:105], s[28:29], v[146:147] neg_lo:[1,0,0] neg_hi:[1,0,0]
	v_pk_fma_f32 v[144:145], v[104:105], s[28:29], v[146:147]
	v_pk_mul_f32 v[162:163], v[110:111], s[52:53]
	v_mov_b32_e32 v151, v145
	v_pk_add_f32 v[190:191], v[150:151], v[148:149]
	v_pk_fma_f32 v[148:149], v[74:75], s[10:11], v[152:153]
	v_pk_fma_f32 v[150:151], v[76:77], s[20:21], v[154:155]
	v_mov_b32_e32 v157, v149
	v_mov_b32_e32 v159, v151
	v_pk_add_f32 v[156:157], v[156:157], v[0:1]
	v_pk_fma_f32 v[160:161], v[112:113], s[30:31], v[162:163] neg_lo:[1,0,0] neg_hi:[1,0,0]
	v_pk_add_f32 v[158:159], v[158:159], v[156:157]
	v_pk_fma_f32 v[156:157], v[78:79], s[30:31], v[162:163]
	v_pk_mul_f32 v[166:167], v[122:123], s[38:39]
	v_mov_b32_e32 v161, v157
	v_pk_add_f32 v[160:161], v[160:161], v[158:159]
	v_pk_fma_f32 v[164:165], v[92:93], s[28:29], v[166:167] neg_lo:[1,0,0] neg_hi:[1,0,0]
	v_pk_fma_f32 v[158:159], v[92:93], s[28:29], v[166:167]
	v_pk_mul_f32 v[168:169], v[116:117], s[24:25]
	v_mov_b32_e32 v165, v159
	v_pk_add_f32 v[164:165], v[164:165], v[160:161]
	v_pk_fma_f32 v[170:171], v[98:99], s[12:13], v[168:169] neg_lo:[1,0,0] neg_hi:[1,0,0]
	v_pk_fma_f32 v[160:161], v[98:99], s[12:13], v[168:169]
	v_pk_mul_f32 v[196:197], v[124:125], s[46:47]
	v_mov_b32_e32 v171, v161
	v_pk_add_f32 v[192:193], v[170:171], v[164:165]
	v_pk_mul_f32 v[170:171], v[114:115], s[22:23]
	v_pk_fma_f32 v[198:199], v[76:77], s[26:27], v[196:197] neg_lo:[1,0,0] neg_hi:[1,0,0]
	v_pk_fma_f32 v[194:195], v[104:105], s[16:17], v[170:171] neg_lo:[1,0,0] neg_hi:[1,0,0]
	v_pk_fma_f32 v[164:165], v[104:105], s[16:17], v[170:171]
	v_pk_fma_f32 v[200:201], v[76:77], s[26:27], v[196:197]
	v_mov_b32_e32 v195, v165
	v_pk_add_f32 v[192:193], v[194:195], v[192:193]
	ds_write2_b64 v5, v[190:191], v[192:193] offset0:4 offset1:6
	v_pk_mul_f32 v[190:191], v[132:133], s[40:41]
	v_mov_b32_e32 v199, v201
	v_pk_fma_f32 v[192:193], v[74:75], s[14:15], v[190:191] neg_lo:[1,0,0] neg_hi:[1,0,0]
	v_pk_fma_f32 v[194:195], v[74:75], s[14:15], v[190:191]
	v_pk_mul_f32 v[222:223], v[124:125], s[44:45]
	v_mov_b32_e32 v193, v195
	v_pk_add_f32 v[192:193], v[192:193], v[0:1]
	v_pk_fma_f32 v[224:225], v[76:77], s[34:35], v[222:223] neg_lo:[1,0,0] neg_hi:[1,0,0]
	v_pk_add_f32 v[192:193], v[198:199], v[192:193]
	v_pk_mul_f32 v[198:199], v[110:111], s[38:39]
	v_pk_fma_f32 v[226:227], v[76:77], s[34:35], v[222:223]
	v_pk_fma_f32 v[202:203], v[112:113], s[28:29], v[198:199] neg_lo:[1,0,0] neg_hi:[1,0,0]
	v_pk_fma_f32 v[204:205], v[78:79], s[28:29], v[198:199]
	v_mov_b32_e32 v225, v227
	v_mov_b32_e32 v203, v205
	v_pk_add_f32 v[192:193], v[202:203], v[192:193]
	v_pk_mul_f32 v[202:203], v[122:123], s[42:43]
	v_pk_mul_f32 v[124:125], v[124:125], s[38:39]
	v_pk_fma_f32 v[206:207], v[92:93], s[10:11], v[202:203] neg_lo:[1,0,0] neg_hi:[1,0,0]
	v_pk_fma_f32 v[208:209], v[92:93], s[10:11], v[202:203]
	v_pk_fma_f32 v[244:245], v[76:77], s[28:29], v[124:125]
	v_mov_b32_e32 v207, v209
	v_pk_add_f32 v[192:193], v[206:207], v[192:193]
	v_pk_mul_f32 v[206:207], v[116:117], s[58:59]
	v_mov_b32_e32 v19, v33
	v_pk_fma_f32 v[210:211], v[98:99], s[50:51], v[206:207] neg_lo:[1,0,0] neg_hi:[1,0,0]
	v_pk_fma_f32 v[212:213], v[98:99], s[50:51], v[206:207]
	v_pk_add_f32 v[32:33], v[70:71], v[12:13] neg_lo:[0,1] neg_hi:[0,1]
	v_mov_b32_e32 v211, v213
	v_pk_add_f32 v[192:193], v[210:211], v[192:193]
	v_pk_mul_f32 v[210:211], v[114:115], s[56:57]
	v_mov_b32_e32 v26, v12
	v_pk_fma_f32 v[214:215], v[104:105], s[48:49], v[210:211] neg_lo:[1,0,0] neg_hi:[1,0,0]
	v_pk_fma_f32 v[216:217], v[104:105], s[48:49], v[210:211]
	v_mov_b32_e32 v33, v72
	v_mov_b32_e32 v215, v217
	v_pk_add_f32 v[192:193], v[214:215], v[192:193]
	v_pk_mul_f32 v[214:215], v[132:133], s[22:23]
	v_pk_mul_f32 v[132:133], v[132:133], s[18:19]
	v_pk_fma_f32 v[218:219], v[74:75], s[16:17], v[214:215] neg_lo:[1,0,0] neg_hi:[1,0,0]
	v_pk_fma_f32 v[220:221], v[74:75], s[16:17], v[214:215]
	v_mov_b32_e32 v7, v27
	v_mov_b32_e32 v219, v221
	v_pk_add_f32 v[218:219], v[218:219], v[0:1]
	v_mov_b32_e32 v27, v11
	v_pk_add_f32 v[218:219], v[224:225], v[218:219]
	v_pk_mul_f32 v[224:225], v[110:111], s[24:25]
	v_pk_mul_f32 v[110:111], v[110:111], s[22:23]
	v_pk_fma_f32 v[228:229], v[112:113], s[12:13], v[224:225] neg_lo:[1,0,0] neg_hi:[1,0,0]
	v_pk_fma_f32 v[230:231], v[78:79], s[12:13], v[224:225]
	v_pk_fma_f32 v[112:113], v[112:113], s[16:17], v[110:111] neg_lo:[1,0,0] neg_hi:[1,0,0]
	v_mov_b32_e32 v229, v231
	v_pk_add_f32 v[218:219], v[228:229], v[218:219]
	v_pk_mul_f32 v[228:229], v[122:123], s[58:59]
	v_pk_mul_f32 v[122:123], v[122:123], s[56:57]
	v_pk_fma_f32 v[232:233], v[92:93], s[50:51], v[228:229] neg_lo:[1,0,0] neg_hi:[1,0,0]
	v_pk_fma_f32 v[234:235], v[92:93], s[50:51], v[228:229]
	v_pk_fma_f32 v[246:247], v[92:93], s[48:49], v[122:123]
	v_mov_b32_e32 v233, v235
	v_pk_add_f32 v[218:219], v[232:233], v[218:219]
	v_pk_mul_f32 v[232:233], v[116:117], s[38:39]
	v_pk_mul_f32 v[116:117], v[116:117], s[40:41]
	v_pk_fma_f32 v[236:237], v[98:99], s[28:29], v[232:233] neg_lo:[1,0,0] neg_hi:[1,0,0]
	v_pk_fma_f32 v[238:239], v[98:99], s[28:29], v[232:233]
	v_pk_fma_f32 v[248:249], v[98:99], s[14:15], v[116:117]
	v_mov_b32_e32 v237, v239
	v_pk_add_f32 v[218:219], v[236:237], v[218:219]
	v_pk_mul_f32 v[236:237], v[114:115], s[40:41]
	v_pk_mul_f32 v[114:115], v[114:115], s[44:45]
	v_pk_fma_f32 v[240:241], v[104:105], s[14:15], v[236:237] neg_lo:[1,0,0] neg_hi:[1,0,0]
	v_pk_fma_f32 v[242:243], v[104:105], s[14:15], v[236:237]
	v_pk_fma_f32 v[250:251], v[104:105], s[34:35], v[114:115]
	v_mov_b32_e32 v241, v243
	v_pk_add_f32 v[218:219], v[240:241], v[218:219]
	ds_write2_b64 v5, v[192:193], v[218:219] offset0:8 offset1:10
	v_pk_fma_f32 v[192:193], v[74:75], s[20:21], v[132:133] neg_lo:[1,0,0] neg_hi:[1,0,0]
	v_pk_fma_f32 v[218:219], v[74:75], s[20:21], v[132:133]
	v_pk_fma_f32 v[240:241], v[76:77], s[28:29], v[124:125] neg_lo:[1,0,0] neg_hi:[1,0,0]
	v_mov_b32_e32 v193, v219
	v_mov_b32_e32 v241, v245
	v_pk_add_f32 v[192:193], v[192:193], v[0:1]
	v_pk_fma_f32 v[132:133], v[74:75], s[20:21], v[132:133] neg_lo:[0,0,1] neg_hi:[0,0,1]
	v_pk_add_f32 v[192:193], v[240:241], v[192:193]
	v_pk_fma_f32 v[240:241], v[78:79], s[16:17], v[110:111]
	v_pk_fma_f32 v[110:111], v[78:79], s[16:17], v[110:111] neg_lo:[0,0,1] neg_hi:[0,0,1]
	v_mov_b32_e32 v113, v241
	v_pk_add_f32 v[112:113], v[112:113], v[192:193]
	v_pk_fma_f32 v[192:193], v[92:93], s[48:49], v[122:123] neg_lo:[1,0,0] neg_hi:[1,0,0]
	v_mov_b32_e32 v241, v111
	v_mov_b32_e32 v193, v247
	v_pk_add_f32 v[112:113], v[192:193], v[112:113]
	v_pk_fma_f32 v[192:193], v[98:99], s[14:15], v[116:117] neg_lo:[1,0,0] neg_hi:[1,0,0]
	v_pk_fma_f32 v[110:111], v[92:93], s[48:49], v[122:123] neg_lo:[0,0,1] neg_hi:[0,0,1]
	v_mov_b32_e32 v193, v249
	v_mov_b32_e32 v247, v111
	v_pk_fma_f32 v[110:111], v[98:99], s[14:15], v[116:117] neg_lo:[0,0,1] neg_hi:[0,0,1]
	v_pk_add_f32 v[112:113], v[192:193], v[112:113]
	v_pk_fma_f32 v[192:193], v[104:105], s[34:35], v[114:115] neg_lo:[1,0,0] neg_hi:[1,0,0]
	v_mov_b32_e32 v219, v133
	v_pk_fma_f32 v[124:125], v[76:77], s[28:29], v[124:125] neg_lo:[0,0,1] neg_hi:[0,0,1]
	v_mov_b32_e32 v249, v111
	;; [unrolled: 2-line block ×3, first 2 shown]
	v_mov_b32_e32 v245, v125
	v_mov_b32_e32 v251, v111
	v_pk_add_f32 v[110:111], v[218:219], v[0:1]
	v_pk_add_f32 v[112:113], v[192:193], v[112:113]
	;; [unrolled: 1-line block ×3, first 2 shown]
	v_mov_b32_e32 v22, v14
	v_pk_add_f32 v[110:111], v[240:241], v[110:111]
	v_mov_b32_e32 v31, v67
	v_pk_add_f32 v[110:111], v[246:247], v[110:111]
	v_mov_b32_e32 v29, v65
	v_pk_add_f32 v[110:111], v[248:249], v[110:111]
	v_mov_b32_e32 v25, v61
	v_pk_add_f32 v[110:111], v[250:251], v[110:111]
	ds_write2_b64 v5, v[112:113], v[110:111] offset0:12 offset1:14
	v_pk_fma_f32 v[110:111], v[74:75], s[16:17], v[214:215] neg_lo:[0,0,1] neg_hi:[0,0,1]
	v_pk_fma_f32 v[112:113], v[74:75], s[14:15], v[190:191] neg_lo:[0,0,1] neg_hi:[0,0,1]
	v_mov_b32_e32 v221, v111
	v_pk_fma_f32 v[110:111], v[76:77], s[34:35], v[222:223] neg_lo:[0,0,1] neg_hi:[0,0,1]
	v_mov_b32_e32 v195, v113
	;; [unrolled: 2-line block ×11, first 2 shown]
	v_pk_add_f32 v[110:111], v[220:221], v[0:1]
	v_mov_b32_e32 v217, v113
	v_pk_add_f32 v[112:113], v[194:195], v[0:1]
	v_pk_add_f32 v[110:111], v[226:227], v[110:111]
	;; [unrolled: 1-line block ×11, first 2 shown]
	ds_write2_b64 v5, v[110:111], v[112:113] offset0:16 offset1:18
	v_pk_fma_f32 v[110:111], v[74:75], s[10:11], v[152:153] neg_lo:[0,0,1] neg_hi:[0,0,1]
	v_pk_fma_f32 v[112:113], v[74:75], s[12:13], v[126:127] neg_lo:[0,0,1] neg_hi:[0,0,1]
	v_mov_b32_e32 v149, v111
	v_pk_fma_f32 v[110:111], v[76:77], s[20:21], v[154:155] neg_lo:[0,0,1] neg_hi:[0,0,1]
	v_mov_b32_e32 v119, v113
	;; [unrolled: 2-line block ×8, first 2 shown]
	v_pk_fma_f32 v[112:113], v[98:99], s[34:35], v[142:143] neg_lo:[0,0,1] neg_hi:[0,0,1]
	v_pk_fma_f32 v[74:75], v[74:75], s[36:37], v[82:83] neg_lo:[0,0,1] neg_hi:[0,0,1]
	v_mov_b32_e32 v161, v111
	v_pk_fma_f32 v[110:111], v[104:105], s[16:17], v[170:171] neg_lo:[0,0,1] neg_hi:[0,0,1]
	v_mov_b32_e32 v139, v113
	;; [unrolled: 2-line block ×4, first 2 shown]
	v_pk_add_f32 v[110:111], v[148:149], v[0:1]
	v_mov_b32_e32 v145, v113
	v_pk_add_f32 v[112:113], v[118:119], v[0:1]
	v_pk_add_f32 v[0:1], v[80:81], v[0:1]
	v_mov_b32_e32 v85, v75
	v_pk_fma_f32 v[74:75], v[78:79], s[10:11], v[90:91] neg_lo:[0,0,1] neg_hi:[0,0,1]
	v_pk_add_f32 v[0:1], v[84:85], v[0:1]
	v_mov_b32_e32 v89, v75
	v_pk_fma_f32 v[74:75], v[92:93], s[14:15], v[96:97] neg_lo:[0,0,1] neg_hi:[0,0,1]
	;; [unrolled: 3-line block ×3, first 2 shown]
	v_pk_add_f32 v[110:111], v[150:151], v[110:111]
	v_pk_add_f32 v[112:113], v[120:121], v[112:113]
	;; [unrolled: 1-line block ×3, first 2 shown]
	v_mov_b32_e32 v101, v75
	v_pk_fma_f32 v[74:75], v[104:105], s[20:21], v[108:109] neg_lo:[0,0,1] neg_hi:[0,0,1]
	v_pk_add_f32 v[110:111], v[156:157], v[110:111]
	v_pk_add_f32 v[112:113], v[130:131], v[112:113]
	;; [unrolled: 1-line block ×3, first 2 shown]
	v_mov_b32_e32 v107, v75
	v_pk_add_f32 v[110:111], v[158:159], v[110:111]
	v_pk_add_f32 v[112:113], v[134:135], v[112:113]
	;; [unrolled: 1-line block ×5, first 2 shown]
	ds_write_b64 v5, v[0:1] offset:192
	v_mov_b32_e32 v1, v68
	v_pk_add_f32 v[110:111], v[164:165], v[110:111]
	v_pk_add_f32 v[112:113], v[144:145], v[112:113]
	;; [unrolled: 1-line block ×4, first 2 shown]
	v_mov_b32_e32 v0, v11
	v_mov_b32_e32 v10, v17
	ds_write2_b64 v5, v[110:111], v[112:113] offset0:20 offset1:22
	v_pk_add_f32 v[96:97], v[68:69], v[0:1] neg_lo:[0,1] neg_hi:[0,1]
	v_mov_b32_e32 v5, v23
	v_add_f32_e32 v1, v63, v23
	v_sub_f32_e32 v0, v63, v23
	v_mov_b32_e32 v23, v17
	v_pk_add_f32 v[98:99], v[72:73], v[10:11] neg_lo:[0,1] neg_hi:[0,1]
	v_pk_add_f32 v[10:11], v[32:33], v[16:17]
	v_pk_add_f32 v[100:101], v[2:3], v[14:15]
	v_pk_add_f32 v[14:15], v[2:3], v[14:15] neg_lo:[0,1] neg_hi:[0,1]
	v_pk_add_f32 v[2:3], v[2:3], v[8:9]
	v_pk_add_f32 v[16:17], v[32:33], v[8:9]
	v_mov_b32_e32 v71, v68
	v_mov_b32_e32 v3, v17
	v_pk_add_f32 v[2:3], v[2:3], v[70:71]
	v_mov_b32_e32 v21, v35
	v_pk_add_f32 v[2:3], v[2:3], v[62:63]
	;; [unrolled: 2-line block ×3, first 2 shown]
	v_add_f32_e32 v84, v62, v4
	v_pk_add_f32 v[2:3], v[2:3], v[28:29]
	v_sub_f32_e32 v85, v62, v4
	v_pk_add_f32 v[2:3], v[2:3], v[24:25]
	v_mov_b32_e32 v10, v98
	v_pk_add_f32 v[2:3], v[2:3], v[20:21]
	v_pk_add_f32 v[74:75], v[24:25], v[20:21]
	;; [unrolled: 1-line block ×3, first 2 shown]
	v_pk_add_f32 v[34:35], v[24:25], v[20:21] neg_lo:[0,1] neg_hi:[0,1]
	v_pk_add_f32 v[2:3], v[2:3], v[6:7]
	v_pk_add_f32 v[94:95], v[30:31], v[6:7]
	;; [unrolled: 1-line block ×3, first 2 shown]
	v_pk_mul_f32 v[4:5], v[100:101], s[54:55]
	v_pk_add_f32 v[2:3], v[2:3], v[26:27]
	v_pk_add_f32 v[24:25], v[30:31], v[6:7] neg_lo:[0,1] neg_hi:[0,1]
	v_pk_add_f32 v[62:63], v[2:3], v[22:23]
	v_mov_b32_e32 v91, v32
	v_pk_fma_f32 v[6:7], v[98:99], s[36:37], v[4:5] neg_lo:[1,0,0] neg_hi:[1,0,0]
	v_pk_fma_f32 v[2:3], v[10:11], s[36:37], v[4:5]
	v_mov_b32_e32 v12, v96
	v_mov_b32_e32 v7, v3
	v_pk_mul_f32 v[14:15], v[90:91], s[24:25]
	v_pk_add_f32 v[82:83], v[28:29], v[18:19]
	v_pk_add_f32 v[28:29], v[28:29], v[18:19] neg_lo:[0,1] neg_hi:[0,1]
	v_pk_add_f32 v[16:17], v[6:7], v[8:9]
	v_pk_fma_f32 v[18:19], v[96:97], s[12:13], v[14:15] neg_lo:[1,0,0] neg_hi:[1,0,0]
	v_pk_fma_f32 v[6:7], v[12:13], s[12:13], v[14:15]
	v_lshrrev_b32_e32 v3, 1, v42
	v_mov_b32_e32 v19, v7
	v_pk_add_f32 v[20:21], v[18:19], v[16:17]
	v_pk_mul_f32 v[18:19], v[84:85], s[42:43]
	v_mul_lo_u32 v3, v3, 26
	v_pk_fma_f32 v[22:23], v[0:1], s[10:11], v[18:19] neg_lo:[1,0,0] neg_hi:[1,0,0]
	v_pk_fma_f32 v[16:17], v[0:1], s[10:11], v[18:19]
	v_or_b32_e32 v3, v3, v189
	v_mov_b32_e32 v23, v17
	v_pk_add_f32 v[26:27], v[22:23], v[20:21]
	v_mov_b32_e32 v21, v95
	v_mov_b32_e32 v95, v24
	;; [unrolled: 1-line block ×3, first 2 shown]
	v_pk_mul_f32 v[24:25], v[94:95], s[40:41]
	v_lshl_add_u32 v189, v3, 3, 0
	v_pk_fma_f32 v[30:31], v[20:21], s[14:15], v[24:25] neg_lo:[1,0,0] neg_hi:[1,0,0]
	v_pk_fma_f32 v[22:23], v[20:21], s[14:15], v[24:25]
	v_pk_mul_f32 v[68:69], v[90:91], s[40:41]
	v_mov_b32_e32 v31, v23
	v_pk_add_f32 v[32:33], v[30:31], v[26:27]
	v_mov_b32_e32 v27, v83
	v_mov_b32_e32 v83, v28
	;; [unrolled: 1-line block ×3, first 2 shown]
	v_pk_mul_f32 v[30:31], v[82:83], s[22:23]
	v_pk_fma_f32 v[72:73], v[96:97], s[14:15], v[68:69] neg_lo:[1,0,0] neg_hi:[1,0,0]
	v_pk_fma_f32 v[60:61], v[26:27], s[16:17], v[30:31] neg_lo:[1,0,0] neg_hi:[1,0,0]
	v_pk_fma_f32 v[28:29], v[26:27], s[16:17], v[30:31]
	v_pk_mul_f32 v[78:79], v[84:85], s[18:19]
	v_mov_b32_e32 v61, v29
	v_pk_add_f32 v[64:65], v[60:61], v[32:33]
	v_mov_b32_e32 v33, v75
	v_mov_b32_e32 v75, v34
	;; [unrolled: 1-line block ×3, first 2 shown]
	v_pk_mul_f32 v[60:61], v[74:75], s[18:19]
	v_pk_fma_f32 v[76:77], v[0:1], s[20:21], v[78:79] neg_lo:[1,0,0] neg_hi:[1,0,0]
	v_pk_fma_f32 v[66:67], v[32:33], s[20:21], v[60:61] neg_lo:[1,0,0] neg_hi:[1,0,0]
	v_pk_fma_f32 v[34:35], v[32:33], s[20:21], v[60:61]
	v_pk_mul_f32 v[86:87], v[94:95], s[46:47]
	v_mov_b32_e32 v67, v35
	v_pk_add_f32 v[64:65], v[66:67], v[64:65]
	v_pk_mul_f32 v[66:67], v[100:101], s[24:25]
	ds_write2_b64 v189, v[62:63], v[64:65] offset1:2
	v_pk_fma_f32 v[70:71], v[98:99], s[12:13], v[66:67] neg_lo:[1,0,0] neg_hi:[1,0,0]
	v_pk_fma_f32 v[62:63], v[10:11], s[12:13], v[66:67]
	v_pk_fma_f32 v[64:65], v[12:13], s[14:15], v[68:69]
	v_mov_b32_e32 v71, v63
	v_mov_b32_e32 v73, v65
	v_pk_add_f32 v[70:71], v[70:71], v[8:9]
	v_pk_fma_f32 v[80:81], v[20:21], s[26:27], v[86:87] neg_lo:[1,0,0] neg_hi:[1,0,0]
	v_pk_add_f32 v[72:73], v[72:73], v[70:71]
	v_pk_fma_f32 v[70:71], v[0:1], s[20:21], v[78:79]
	v_pk_mul_f32 v[88:89], v[82:83], s[44:45]
	v_mov_b32_e32 v77, v71
	v_pk_add_f32 v[76:77], v[76:77], v[72:73]
	v_pk_fma_f32 v[72:73], v[20:21], s[26:27], v[86:87]
	v_pk_fma_f32 v[92:93], v[26:27], s[34:35], v[88:89] neg_lo:[1,0,0] neg_hi:[1,0,0]
	v_mov_b32_e32 v81, v73
	v_pk_add_f32 v[80:81], v[80:81], v[76:77]
	v_pk_fma_f32 v[76:77], v[26:27], s[34:35], v[88:89]
	v_pk_mul_f32 v[106:107], v[100:101], s[42:43]
	v_mov_b32_e32 v93, v77
	v_pk_add_f32 v[102:103], v[92:93], v[80:81]
	v_pk_mul_f32 v[92:93], v[74:75], s[38:39]
	v_pk_fma_f32 v[110:111], v[98:99], s[10:11], v[106:107] neg_lo:[1,0,0] neg_hi:[1,0,0]
	v_pk_fma_f32 v[104:105], v[32:33], s[28:29], v[92:93] neg_lo:[1,0,0] neg_hi:[1,0,0]
	v_pk_fma_f32 v[80:81], v[32:33], s[28:29], v[92:93]
	v_pk_mul_f32 v[108:109], v[90:91], s[18:19]
	v_mov_b32_e32 v105, v81
	v_pk_add_f32 v[120:121], v[104:105], v[102:103]
	v_pk_fma_f32 v[102:103], v[10:11], s[10:11], v[106:107]
	v_pk_fma_f32 v[112:113], v[96:97], s[20:21], v[108:109] neg_lo:[1,0,0] neg_hi:[1,0,0]
	v_mov_b32_e32 v111, v103
	v_pk_fma_f32 v[104:105], v[12:13], s[20:21], v[108:109]
	v_pk_add_f32 v[110:111], v[110:111], v[8:9]
	v_mov_b32_e32 v113, v105
	v_pk_mul_f32 v[116:117], v[84:85], s[52:53]
	v_pk_add_f32 v[112:113], v[112:113], v[110:111]
	v_pk_fma_f32 v[114:115], v[0:1], s[30:31], v[116:117] neg_lo:[1,0,0] neg_hi:[1,0,0]
	v_pk_fma_f32 v[110:111], v[0:1], s[30:31], v[116:117]
	v_pk_mul_f32 v[122:123], v[94:95], s[38:39]
	v_mov_b32_e32 v115, v111
	v_pk_add_f32 v[114:115], v[114:115], v[112:113]
	v_pk_fma_f32 v[118:119], v[20:21], s[28:29], v[122:123] neg_lo:[1,0,0] neg_hi:[1,0,0]
	v_pk_fma_f32 v[112:113], v[20:21], s[28:29], v[122:123]
	v_pk_mul_f32 v[124:125], v[82:83], s[24:25]
	v_mov_b32_e32 v119, v113
	;; [unrolled: 5-line block ×4, first 2 shown]
	v_pk_add_f32 v[126:127], v[130:131], v[126:127]
	ds_write2_b64 v189, v[120:121], v[126:127] offset0:4 offset1:6
	v_pk_mul_f32 v[120:121], v[100:101], s[40:41]
	v_pk_fma_f32 v[134:135], v[96:97], s[26:27], v[132:133] neg_lo:[1,0,0] neg_hi:[1,0,0]
	v_pk_fma_f32 v[126:127], v[98:99], s[14:15], v[120:121] neg_lo:[1,0,0] neg_hi:[1,0,0]
	v_pk_fma_f32 v[130:131], v[10:11], s[14:15], v[120:121]
	v_pk_fma_f32 v[136:137], v[12:13], s[26:27], v[132:133]
	v_mov_b32_e32 v127, v131
	v_mov_b32_e32 v135, v137
	v_pk_add_f32 v[126:127], v[126:127], v[8:9]
	v_pk_mul_f32 v[158:159], v[90:91], s[44:45]
	v_pk_add_f32 v[126:127], v[134:135], v[126:127]
	v_pk_mul_f32 v[134:135], v[84:85], s[38:39]
	v_pk_fma_f32 v[160:161], v[96:97], s[34:35], v[158:159] neg_lo:[1,0,0] neg_hi:[1,0,0]
	v_pk_fma_f32 v[138:139], v[0:1], s[28:29], v[134:135] neg_lo:[1,0,0] neg_hi:[1,0,0]
	v_pk_fma_f32 v[140:141], v[0:1], s[28:29], v[134:135]
	v_pk_fma_f32 v[162:163], v[12:13], s[34:35], v[158:159]
	v_mov_b32_e32 v139, v141
	v_pk_add_f32 v[126:127], v[138:139], v[126:127]
	v_pk_mul_f32 v[138:139], v[94:95], s[42:43]
	v_mov_b32_e32 v161, v163
	v_pk_fma_f32 v[142:143], v[20:21], s[10:11], v[138:139] neg_lo:[1,0,0] neg_hi:[1,0,0]
	v_pk_fma_f32 v[144:145], v[20:21], s[10:11], v[138:139]
	v_pk_mul_f32 v[90:91], v[90:91], s[38:39]
	v_mov_b32_e32 v143, v145
	v_pk_add_f32 v[126:127], v[142:143], v[126:127]
	v_pk_mul_f32 v[142:143], v[82:83], s[58:59]
	v_pk_fma_f32 v[96:97], v[96:97], s[28:29], v[90:91] neg_lo:[1,0,0] neg_hi:[1,0,0]
	v_pk_fma_f32 v[146:147], v[26:27], s[50:51], v[142:143] neg_lo:[1,0,0] neg_hi:[1,0,0]
	v_pk_fma_f32 v[148:149], v[26:27], s[50:51], v[142:143]
	v_pk_fma_f32 v[66:67], v[10:11], s[12:13], v[66:67] neg_lo:[0,0,1] neg_hi:[0,0,1]
	v_mov_b32_e32 v147, v149
	v_pk_add_f32 v[126:127], v[146:147], v[126:127]
	v_pk_mul_f32 v[146:147], v[74:75], s[56:57]
	v_pk_fma_f32 v[4:5], v[10:11], s[36:37], v[4:5] neg_lo:[0,0,1] neg_hi:[0,0,1]
	v_pk_fma_f32 v[150:151], v[32:33], s[48:49], v[146:147] neg_lo:[1,0,0] neg_hi:[1,0,0]
	v_pk_fma_f32 v[152:153], v[32:33], s[48:49], v[146:147]
	v_mov_b32_e32 v63, v67
	v_mov_b32_e32 v151, v153
	v_pk_add_f32 v[126:127], v[150:151], v[126:127]
	v_pk_mul_f32 v[150:151], v[100:101], s[22:23]
	v_pk_mul_f32 v[100:101], v[100:101], s[18:19]
	v_pk_fma_f32 v[154:155], v[98:99], s[16:17], v[150:151] neg_lo:[1,0,0] neg_hi:[1,0,0]
	v_pk_fma_f32 v[156:157], v[10:11], s[16:17], v[150:151]
	v_pk_fma_f32 v[98:99], v[98:99], s[20:21], v[100:101] neg_lo:[1,0,0] neg_hi:[1,0,0]
	v_mov_b32_e32 v155, v157
	v_pk_add_f32 v[154:155], v[154:155], v[8:9]
	v_pk_fma_f32 v[66:67], v[12:13], s[14:15], v[68:69] neg_lo:[0,0,1] neg_hi:[0,0,1]
	v_pk_add_f32 v[154:155], v[160:161], v[154:155]
	v_pk_mul_f32 v[160:161], v[84:85], s[24:25]
	v_pk_mul_f32 v[84:85], v[84:85], s[22:23]
	v_pk_fma_f32 v[164:165], v[0:1], s[12:13], v[160:161] neg_lo:[1,0,0] neg_hi:[1,0,0]
	v_pk_fma_f32 v[166:167], v[0:1], s[12:13], v[160:161]
	v_mov_b32_e32 v3, v5
	v_mov_b32_e32 v165, v167
	v_pk_add_f32 v[154:155], v[164:165], v[154:155]
	v_pk_mul_f32 v[164:165], v[94:95], s[58:59]
	v_pk_mul_f32 v[94:95], v[94:95], s[56:57]
	v_pk_fma_f32 v[168:169], v[20:21], s[50:51], v[164:165] neg_lo:[1,0,0] neg_hi:[1,0,0]
	v_pk_fma_f32 v[170:171], v[20:21], s[50:51], v[164:165]
	v_pk_fma_f32 v[198:199], v[20:21], s[48:49], v[94:95]
	v_mov_b32_e32 v169, v171
	v_pk_add_f32 v[154:155], v[168:169], v[154:155]
	v_pk_mul_f32 v[168:169], v[82:83], s[38:39]
	v_pk_mul_f32 v[82:83], v[82:83], s[40:41]
	v_pk_fma_f32 v[190:191], v[26:27], s[28:29], v[168:169] neg_lo:[1,0,0] neg_hi:[1,0,0]
	v_pk_fma_f32 v[192:193], v[26:27], s[28:29], v[168:169]
	v_pk_fma_f32 v[200:201], v[26:27], s[14:15], v[82:83]
	;; [unrolled: 7-line block ×3, first 2 shown]
	v_mov_b32_e32 v195, v197
	v_pk_add_f32 v[154:155], v[194:195], v[154:155]
	ds_write2_b64 v189, v[126:127], v[154:155] offset0:8 offset1:10
	v_pk_fma_f32 v[126:127], v[10:11], s[20:21], v[100:101]
	v_pk_fma_f32 v[154:155], v[12:13], s[28:29], v[90:91]
	v_mov_b32_e32 v99, v127
	v_mov_b32_e32 v97, v155
	v_pk_add_f32 v[98:99], v[98:99], v[8:9]
	v_pk_fma_f32 v[194:195], v[0:1], s[16:17], v[84:85]
	v_pk_add_f32 v[96:97], v[96:97], v[98:99]
	v_pk_fma_f32 v[98:99], v[0:1], s[16:17], v[84:85] neg_lo:[1,0,0] neg_hi:[1,0,0]
	v_pk_fma_f32 v[90:91], v[12:13], s[28:29], v[90:91] neg_lo:[0,0,1] neg_hi:[0,0,1]
	v_mov_b32_e32 v99, v195
	v_pk_add_f32 v[96:97], v[98:99], v[96:97]
	v_pk_fma_f32 v[98:99], v[20:21], s[48:49], v[94:95] neg_lo:[1,0,0] neg_hi:[1,0,0]
	v_mov_b32_e32 v155, v91
	v_mov_b32_e32 v99, v199
	v_pk_add_f32 v[96:97], v[98:99], v[96:97]
	v_pk_fma_f32 v[98:99], v[26:27], s[14:15], v[82:83] neg_lo:[1,0,0] neg_hi:[1,0,0]
	v_pk_fma_f32 v[84:85], v[0:1], s[16:17], v[84:85] neg_lo:[0,0,1] neg_hi:[0,0,1]
	v_mov_b32_e32 v99, v201
	v_pk_add_f32 v[96:97], v[98:99], v[96:97]
	v_pk_fma_f32 v[98:99], v[32:33], s[34:35], v[74:75] neg_lo:[1,0,0] neg_hi:[1,0,0]
	v_pk_fma_f32 v[74:75], v[32:33], s[34:35], v[74:75] neg_lo:[0,0,1] neg_hi:[0,0,1]
	v_mov_b32_e32 v99, v203
	v_pk_add_f32 v[96:97], v[98:99], v[96:97]
	v_pk_fma_f32 v[98:99], v[10:11], s[20:21], v[100:101] neg_lo:[0,0,1] neg_hi:[0,0,1]
	v_mov_b32_e32 v203, v75
	v_mov_b32_e32 v127, v99
	v_pk_add_f32 v[74:75], v[126:127], v[8:9]
	v_mov_b32_e32 v195, v85
	v_pk_fma_f32 v[84:85], v[20:21], s[48:49], v[94:95] neg_lo:[0,0,1] neg_hi:[0,0,1]
	v_pk_add_f32 v[74:75], v[154:155], v[74:75]
	v_mov_b32_e32 v199, v85
	v_pk_fma_f32 v[82:83], v[26:27], s[14:15], v[82:83] neg_lo:[0,0,1] neg_hi:[0,0,1]
	v_pk_add_f32 v[74:75], v[194:195], v[74:75]
	v_mov_b32_e32 v201, v83
	v_pk_add_f32 v[74:75], v[198:199], v[74:75]
	v_pk_fma_f32 v[82:83], v[10:11], s[14:15], v[120:121] neg_lo:[0,0,1] neg_hi:[0,0,1]
	v_pk_add_f32 v[74:75], v[200:201], v[74:75]
	v_mov_b32_e32 v131, v83
	v_pk_add_f32 v[74:75], v[202:203], v[74:75]
	ds_write2_b64 v189, v[96:97], v[74:75] offset0:12 offset1:14
	v_pk_fma_f32 v[74:75], v[10:11], s[16:17], v[150:151] neg_lo:[0,0,1] neg_hi:[0,0,1]
	v_pk_fma_f32 v[82:83], v[12:13], s[26:27], v[132:133] neg_lo:[0,0,1] neg_hi:[0,0,1]
	v_mov_b32_e32 v157, v75
	v_pk_fma_f32 v[74:75], v[12:13], s[34:35], v[158:159] neg_lo:[0,0,1] neg_hi:[0,0,1]
	v_mov_b32_e32 v137, v83
	v_mov_b32_e32 v163, v75
	v_pk_fma_f32 v[74:75], v[0:1], s[12:13], v[160:161] neg_lo:[0,0,1] neg_hi:[0,0,1]
	v_pk_fma_f32 v[82:83], v[0:1], s[28:29], v[134:135] neg_lo:[0,0,1] neg_hi:[0,0,1]
	v_mov_b32_e32 v167, v75
	v_pk_fma_f32 v[74:75], v[20:21], s[50:51], v[164:165] neg_lo:[0,0,1] neg_hi:[0,0,1]
	v_mov_b32_e32 v141, v83
	;; [unrolled: 2-line block ×7, first 2 shown]
	v_pk_add_f32 v[74:75], v[156:157], v[8:9]
	v_mov_b32_e32 v153, v83
	v_pk_add_f32 v[82:83], v[130:131], v[8:9]
	v_pk_add_f32 v[74:75], v[162:163], v[74:75]
	;; [unrolled: 1-line block ×11, first 2 shown]
	ds_write2_b64 v189, v[74:75], v[82:83] offset0:16 offset1:18
	v_pk_fma_f32 v[74:75], v[10:11], s[10:11], v[106:107] neg_lo:[0,0,1] neg_hi:[0,0,1]
	v_pk_fma_f32 v[4:5], v[12:13], s[12:13], v[14:15] neg_lo:[0,0,1] neg_hi:[0,0,1]
	v_mov_b32_e32 v103, v75
	v_pk_fma_f32 v[74:75], v[12:13], s[20:21], v[108:109] neg_lo:[0,0,1] neg_hi:[0,0,1]
	v_mov_b32_e32 v65, v67
	v_mov_b32_e32 v105, v75
	v_pk_fma_f32 v[74:75], v[0:1], s[30:31], v[116:117] neg_lo:[0,0,1] neg_hi:[0,0,1]
	v_pk_fma_f32 v[66:67], v[0:1], s[20:21], v[78:79] neg_lo:[0,0,1] neg_hi:[0,0,1]
	v_mov_b32_e32 v111, v75
	v_pk_fma_f32 v[74:75], v[20:21], s[28:29], v[122:123] neg_lo:[0,0,1] neg_hi:[0,0,1]
	v_pk_add_f32 v[2:3], v[2:3], v[8:9]
	v_mov_b32_e32 v113, v75
	v_pk_fma_f32 v[74:75], v[26:27], s[12:13], v[124:125] neg_lo:[0,0,1] neg_hi:[0,0,1]
	v_mov_b32_e32 v7, v5
	v_mov_b32_e32 v115, v75
	v_pk_fma_f32 v[74:75], v[32:33], s[16:17], v[128:129] neg_lo:[0,0,1] neg_hi:[0,0,1]
	v_pk_fma_f32 v[0:1], v[0:1], s[10:11], v[18:19] neg_lo:[0,0,1] neg_hi:[0,0,1]
	v_mov_b32_e32 v119, v75
	v_pk_add_f32 v[74:75], v[102:103], v[8:9]
	v_pk_add_f32 v[62:63], v[62:63], v[8:9]
	;; [unrolled: 1-line block ×3, first 2 shown]
	v_mov_b32_e32 v17, v1
	v_pk_add_f32 v[74:75], v[104:105], v[74:75]
	v_mov_b32_e32 v71, v67
	v_pk_fma_f32 v[66:67], v[20:21], s[26:27], v[86:87] neg_lo:[0,0,1] neg_hi:[0,0,1]
	v_pk_add_f32 v[62:63], v[64:65], v[62:63]
	v_pk_add_f32 v[0:1], v[16:17], v[2:3]
	v_pk_fma_f32 v[2:3], v[20:21], s[14:15], v[24:25] neg_lo:[0,0,1] neg_hi:[0,0,1]
	v_pk_add_f32 v[74:75], v[110:111], v[74:75]
	v_mov_b32_e32 v73, v67
	v_pk_fma_f32 v[66:67], v[26:27], s[34:35], v[88:89] neg_lo:[0,0,1] neg_hi:[0,0,1]
	v_pk_add_f32 v[62:63], v[70:71], v[62:63]
	v_mov_b32_e32 v23, v3
	v_pk_fma_f32 v[2:3], v[26:27], s[16:17], v[30:31] neg_lo:[0,0,1] neg_hi:[0,0,1]
	v_subrev_u32_e32 v116, 26, v38
	v_pk_add_f32 v[74:75], v[112:113], v[74:75]
	v_mov_b32_e32 v77, v67
	v_pk_fma_f32 v[66:67], v[32:33], s[28:29], v[92:93] neg_lo:[0,0,1] neg_hi:[0,0,1]
	v_pk_add_f32 v[62:63], v[72:73], v[62:63]
	v_pk_add_f32 v[0:1], v[22:23], v[0:1]
	v_mov_b32_e32 v29, v3
	v_pk_fma_f32 v[2:3], v[32:33], s[20:21], v[60:61] neg_lo:[0,0,1] neg_hi:[0,0,1]
	v_cndmask_b32_e32 v64, v116, v38, vcc
	v_pk_add_f32 v[74:75], v[114:115], v[74:75]
	v_mov_b32_e32 v81, v67
	v_pk_add_f32 v[62:63], v[76:77], v[62:63]
	v_pk_add_f32 v[0:1], v[28:29], v[0:1]
	v_mov_b32_e32 v35, v3
	v_mul_i32_i24_e32 v60, 12, v64
	v_mov_b32_e32 v61, 0
	v_pk_add_f32 v[74:75], v[118:119], v[74:75]
	v_pk_add_f32 v[62:63], v[80:81], v[62:63]
	;; [unrolled: 1-line block ×3, first 2 shown]
	v_lshl_add_u64 v[28:29], v[60:61], 3, s[8:9]
	ds_write2_b64 v189, v[74:75], v[62:63] offset0:20 offset1:22
	ds_write_b64 v189, v[0:1] offset:192
	s_waitcnt lgkmcnt(0)
	; wave barrier
	s_waitcnt lgkmcnt(0)
	global_load_dwordx4 v[0:3], v[28:29], off offset:192
	global_load_dwordx4 v[4:7], v[28:29], off offset:208
	;; [unrolled: 1-line block ×3, first 2 shown]
	v_mul_lo_u16_sdwa v12, v42, s2 dst_sel:DWORD dst_unused:UNUSED_PAD src0_sel:BYTE_0 src1_sel:DWORD
	v_lshrrev_b16_e32 v60, 11, v12
	v_mul_lo_u16_e32 v12, 26, v60
	v_sub_u16_e32 v88, v42, v12
	v_mov_b32_e32 v12, 12
	v_mul_u32_u24_sdwa v12, v88, v12 dst_sel:DWORD dst_unused:UNUSED_PAD src0_sel:BYTE_0 src1_sel:DWORD
	v_lshlrev_b32_e32 v65, 3, v12
	global_load_dwordx4 v[12:15], v65, s[8:9] offset:256
	global_load_dwordx4 v[16:19], v[28:29], off offset:256
	global_load_dwordx4 v[20:23], v65, s[8:9] offset:240
	global_load_dwordx4 v[24:27], v[28:29], off offset:240
	s_nop 0
	global_load_dwordx4 v[28:31], v[28:29], off offset:272
	ds_read_b64 v[62:63], v181
	ds_read_b64 v[34:35], v182
	;; [unrolled: 1-line block ×3, first 2 shown]
	v_cmp_lt_u32_e64 s[2:3], 25, v38
	v_mul_u32_u24_e32 v60, 0xa90, v60
	s_waitcnt vmcnt(7) lgkmcnt(2)
	v_mul_f32_e32 v66, v1, v63
	v_mul_f32_e32 v117, v1, v62
	v_fma_f32 v89, v0, v62, -v66
	v_fmac_f32_e32 v117, v0, v63
	s_waitcnt lgkmcnt(1)
	v_mul_f32_e32 v0, v3, v35
	v_fma_f32 v110, v2, v34, -v0
	ds_read_b64 v[0:1], v187
	v_mul_f32_e32 v111, v3, v34
	v_fmac_f32_e32 v111, v2, v35
	ds_read_b64 v[2:3], v188
	ds_read_b64 v[34:35], v185
	;; [unrolled: 1-line block ×3, first 2 shown]
	ds_read2_b64 v[70:73], v57 offset0:116 offset1:168
	s_waitcnt vmcnt(6) lgkmcnt(4)
	v_mul_f32_e32 v66, v5, v1
	v_fma_f32 v112, v4, v0, -v66
	v_mul_f32_e32 v113, v5, v0
	v_mov_b32_e32 v0, v7
	v_fmac_f32_e32 v113, v4, v1
	s_waitcnt lgkmcnt(3)
	v_pk_mul_f32 v[0:1], v[2:3], v[0:1] op_sel_hi:[1,0]
	s_waitcnt vmcnt(5)
	v_mov_b32_e32 v4, v11
	v_pk_fma_f32 v[114:115], v[2:3], v[6:7], v[0:1] op_sel:[0,0,1] op_sel_hi:[1,1,0] neg_lo:[0,0,1] neg_hi:[0,0,1]
	v_pk_fma_f32 v[74:75], v[2:3], v[6:7], v[0:1] op_sel:[0,0,1] op_sel_hi:[1,0,0]
	s_waitcnt lgkmcnt(2)
	v_pk_mul_f32 v[0:1], v[34:35], v[8:9] op_sel:[0,1]
	s_waitcnt lgkmcnt(1)
	v_pk_mul_f32 v[4:5], v[62:63], v[4:5] op_sel_hi:[1,0]
	v_pk_fma_f32 v[118:119], v[34:35], v[8:9], v[0:1] op_sel:[0,0,1] op_sel_hi:[1,1,0] neg_lo:[0,0,1] neg_hi:[0,0,1]
	v_pk_fma_f32 v[34:35], v[34:35], v[8:9], v[0:1] op_sel:[0,0,1] op_sel_hi:[1,0,0]
	ds_read2_b64 v[0:3], v53 offset0:68 offset1:120
	ds_read2_b64 v[66:69], v180 offset0:92 offset1:144
	v_pk_fma_f32 v[120:121], v[62:63], v[10:11], v[4:5] op_sel:[0,0,1] op_sel_hi:[1,1,0] neg_lo:[0,0,1] neg_hi:[0,0,1]
	v_pk_fma_f32 v[62:63], v[62:63], v[10:11], v[4:5] op_sel:[0,0,1] op_sel_hi:[1,0,0]
	s_waitcnt vmcnt(4)
	v_mov_b32_e32 v4, v15
	s_waitcnt lgkmcnt(1)
	v_pk_mul_f32 v[4:5], v[0:1], v[4:5]
	v_mov_b32_e32 v6, v1
	v_pk_fma_f32 v[4:5], v[6:7], v[14:15], v[4:5]
	v_pk_mul_f32 v[6:7], v[0:1], v[14:15]
	ds_read2_b64 v[94:97], v51 offset0:164 offset1:216
	v_mov_b32_e32 v6, v7
	v_pk_fma_f32 v[6:7], v[0:1], v[14:15], v[6:7] neg_lo:[0,0,1] neg_hi:[0,0,1]
	s_waitcnt lgkmcnt(1)
	v_pk_mul_f32 v[0:1], v[66:67], v[12:13] op_sel:[0,1]
	v_mov_b32_e32 v115, v75
	v_pk_fma_f32 v[8:9], v[66:67], v[12:13], v[0:1] op_sel:[0,0,1] op_sel_hi:[1,1,0] neg_lo:[0,0,1] neg_hi:[0,0,1]
	v_pk_fma_f32 v[14:15], v[66:67], v[12:13], v[0:1] op_sel:[0,0,1] op_sel_hi:[1,0,0]
	s_waitcnt vmcnt(3)
	v_mov_b32_e32 v0, v19
	v_pk_mul_f32 v[0:1], v[68:69], v[0:1] op_sel_hi:[1,0]
	v_mov_b32_e32 v119, v35
	v_pk_fma_f32 v[122:123], v[68:69], v[18:19], v[0:1] op_sel:[0,0,1] op_sel_hi:[1,0,0] neg_lo:[0,0,1] neg_hi:[0,0,1]
	v_pk_fma_f32 v[124:125], v[68:69], v[18:19], v[0:1] op_sel:[0,0,1] op_sel_hi:[1,0,0]
	v_pk_mul_f32 v[0:1], v[72:73], v[16:17] op_sel:[0,1]
	ds_read2_b64 v[66:69], v57 offset0:12 offset1:64
	v_pk_fma_f32 v[126:127], v[72:73], v[16:17], v[0:1] op_sel:[0,0,1] op_sel_hi:[1,1,0] neg_lo:[0,0,1] neg_hi:[0,0,1]
	v_pk_fma_f32 v[0:1], v[72:73], v[16:17], v[0:1] op_sel:[0,0,1] op_sel_hi:[1,0,0]
	global_load_dwordx4 v[90:93], v65, s[8:9] offset:272
	global_load_dwordx4 v[78:81], v65, s[8:9] offset:224
	s_waitcnt vmcnt(4)
	v_mov_b32_e32 v0, v23
	v_pk_mul_f32 v[12:13], v[70:71], v[0:1] op_sel_hi:[1,0]
	s_waitcnt lgkmcnt(0)
	v_pk_mul_f32 v[18:19], v[66:67], v[20:21] op_sel:[0,1]
	v_pk_fma_f32 v[10:11], v[70:71], v[22:23], v[12:13] op_sel:[0,0,1] op_sel_hi:[1,1,0] neg_lo:[0,0,1] neg_hi:[0,0,1]
	v_pk_fma_f32 v[16:17], v[70:71], v[22:23], v[12:13] op_sel:[0,0,1] op_sel_hi:[1,0,0]
	s_waitcnt vmcnt(3)
	v_pk_mul_f32 v[22:23], v[96:97], v[24:25] op_sel:[0,1]
	v_mov_b32_e32 v0, v27
	v_pk_fma_f32 v[130:131], v[96:97], v[24:25], v[22:23] op_sel:[0,0,1] op_sel_hi:[1,1,0] neg_lo:[0,0,1] neg_hi:[0,0,1]
	v_pk_fma_f32 v[22:23], v[96:97], v[24:25], v[22:23] op_sel:[0,0,1] op_sel_hi:[1,0,0]
	ds_read2_b64 v[96:99], v53 offset0:172 offset1:224
	v_pk_fma_f32 v[12:13], v[66:67], v[20:21], v[18:19] op_sel:[0,0,1] op_sel_hi:[1,1,0] neg_lo:[0,0,1] neg_hi:[0,0,1]
	v_pk_fma_f32 v[20:21], v[66:67], v[20:21], v[18:19] op_sel:[0,0,1] op_sel_hi:[1,0,0]
	v_pk_mul_f32 v[18:19], v[68:69], v[0:1] op_sel_hi:[1,0]
	s_waitcnt vmcnt(2)
	v_pk_mul_f32 v[24:25], v[2:3], v[28:29] op_sel:[0,1]
	v_pk_fma_f32 v[128:129], v[68:69], v[26:27], v[18:19] op_sel:[0,0,1] op_sel_hi:[1,1,0] neg_lo:[0,0,1] neg_hi:[0,0,1]
	v_pk_fma_f32 v[18:19], v[68:69], v[26:27], v[18:19] op_sel:[0,0,1] op_sel_hi:[1,0,0]
	v_mov_b32_e32 v0, v31
	v_mov_b32_e32 v127, v1
	v_pk_fma_f32 v[132:133], v[2:3], v[28:29], v[24:25] op_sel:[0,0,1] op_sel_hi:[1,0,0] neg_lo:[0,0,1] neg_hi:[0,0,1]
	v_pk_fma_f32 v[134:135], v[2:3], v[28:29], v[24:25] op_sel:[0,0,1] op_sel_hi:[1,0,0]
	s_waitcnt lgkmcnt(0)
	v_pk_mul_f32 v[2:3], v[98:99], v[0:1] op_sel_hi:[1,0]
	v_mov_b32_e32 v129, v19
	v_pk_add_f32 v[74:75], v[114:115], v[126:127]
	v_pk_add_f32 v[0:1], v[114:115], v[126:127] neg_lo:[0,1] neg_hi:[0,1]
	v_mov_b32_e32 v121, v63
	v_mov_b32_e32 v131, v23
	;; [unrolled: 1-line block ×5, first 2 shown]
	v_pk_add_f32 v[72:73], v[118:119], v[128:129]
	v_pk_add_f32 v[0:1], v[118:119], v[128:129] neg_lo:[0,1] neg_hi:[0,1]
	v_pk_fma_f32 v[136:137], v[98:99], v[30:31], v[2:3] op_sel:[0,0,1] op_sel_hi:[1,0,0] neg_lo:[0,0,1] neg_hi:[0,0,1]
	v_pk_fma_f32 v[138:139], v[98:99], v[30:31], v[2:3] op_sel:[0,0,1] op_sel_hi:[1,0,0]
	v_mov_b32_e32 v22, v1
	v_mov_b32_e32 v23, v73
	v_mov_b32_e32 v73, v0
	v_pk_add_f32 v[70:71], v[120:121], v[130:131]
	v_pk_add_f32 v[0:1], v[120:121], v[130:131] neg_lo:[0,1] neg_hi:[0,1]
	global_load_dwordx4 v[98:101], v65, s[8:9] offset:208
	v_mov_b32_e32 v29, v71
	v_mov_b32_e32 v71, v0
	;; [unrolled: 1-line block ×3, first 2 shown]
	v_pk_mul_f32 v[102:103], v[70:71], s[22:23]
	v_add_f32_e32 v82, v89, v136
	v_pk_fma_f32 v[150:151], v[28:29], s[16:17], v[102:103] neg_lo:[1,0,0] neg_hi:[1,0,0]
	v_pk_fma_f32 v[106:107], v[28:29], s[16:17], v[102:103]
	v_pk_fma_f32 v[102:103], v[28:29], s[16:17], v[102:103] neg_lo:[0,0,1] neg_hi:[0,0,1]
	v_mov_b32_e32 v151, v107
	v_mov_b32_e32 v107, v103
	global_load_dwordx4 v[102:105], v65, s[8:9] offset:192
	v_sub_f32_e32 v83, v89, v136
	v_add_f32_e32 v31, v117, v139
	v_sub_f32_e32 v30, v117, v139
	v_pk_mul_f32 v[0:1], v[82:83], s[42:43]
	v_add_f32_e32 v84, v110, v132
	v_pk_fma_f32 v[140:141], v[30:31], s[10:11], v[0:1] neg_lo:[1,0,0] neg_hi:[1,0,0]
	v_pk_fma_f32 v[24:25], v[30:31], s[10:11], v[0:1]
	v_pk_fma_f32 v[0:1], v[30:31], s[10:11], v[0:1] neg_lo:[0,0,1] neg_hi:[0,0,1]
	v_sub_f32_e32 v85, v110, v132
	v_mov_b32_e32 v141, v25
	v_mov_b32_e32 v25, v1
	v_add_f32_e32 v35, v111, v135
	v_sub_f32_e32 v34, v111, v135
	v_pk_mul_f32 v[0:1], v[84:85], s[18:19]
	v_add_f32_e32 v86, v112, v122
	v_pk_fma_f32 v[142:143], v[34:35], s[20:21], v[0:1] neg_lo:[1,0,0] neg_hi:[1,0,0]
	v_pk_fma_f32 v[26:27], v[34:35], s[20:21], v[0:1]
	v_pk_fma_f32 v[0:1], v[34:35], s[20:21], v[0:1] neg_lo:[0,0,1] neg_hi:[0,0,1]
	v_sub_f32_e32 v87, v112, v122
	v_mov_b32_e32 v143, v27
	v_mov_b32_e32 v27, v1
	v_add_f32_e32 v63, v113, v125
	v_sub_f32_e32 v62, v113, v125
	v_pk_mul_f32 v[0:1], v[86:87], s[52:53]
	v_mov_b32_e32 v9, 0xa90
	v_pk_fma_f32 v[144:145], v[62:63], s[30:31], v[0:1] neg_lo:[1,0,0] neg_hi:[1,0,0]
	v_pk_fma_f32 v[66:67], v[62:63], s[30:31], v[0:1]
	v_pk_fma_f32 v[0:1], v[62:63], s[30:31], v[0:1] neg_lo:[0,0,1] neg_hi:[0,0,1]
	v_mov_b32_e32 v145, v67
	v_mov_b32_e32 v67, v1
	v_pk_mul_f32 v[0:1], v[74:75], s[38:39]
	v_cndmask_b32_e64 v9, 0, v9, s[2:3]
	v_pk_fma_f32 v[146:147], v[18:19], s[28:29], v[0:1] neg_lo:[1,0,0] neg_hi:[1,0,0]
	v_pk_fma_f32 v[68:69], v[18:19], s[28:29], v[0:1]
	v_pk_fma_f32 v[0:1], v[18:19], s[28:29], v[0:1] neg_lo:[0,0,1] neg_hi:[0,0,1]
	v_mov_b32_e32 v147, v69
	v_mov_b32_e32 v69, v1
	v_pk_mul_f32 v[0:1], v[72:73], s[24:25]
	v_lshlrev_b32_e32 v11, 3, v64
	v_pk_fma_f32 v[148:149], v[22:23], s[12:13], v[0:1] neg_lo:[1,0,0] neg_hi:[1,0,0]
	v_pk_fma_f32 v[76:77], v[22:23], s[12:13], v[0:1]
	v_pk_fma_f32 v[0:1], v[22:23], s[12:13], v[0:1] neg_lo:[0,0,1] neg_hi:[0,0,1]
	v_mov_b32_e32 v149, v77
	v_mov_b32_e32 v77, v1
	ds_read2_b64 v[0:3], v172 offset1:156
	v_add3_u32 v9, 0, v9, v11
	v_add_u32_e32 v11, 0x800, v9
	s_waitcnt vmcnt(2)
	v_mov_b32_e32 v14, v81
	v_mov_b32_e32 v123, v125
	s_waitcnt lgkmcnt(0)
	v_pk_add_f32 v[24:25], v[24:25], v[0:1]
	v_mov_b32_e32 v133, v135
	v_pk_add_f32 v[24:25], v[26:27], v[24:25]
	v_mov_b32_e32 v137, v139
	v_pk_add_f32 v[24:25], v[66:67], v[24:25]
	s_mov_b32 s2, s12
	v_pk_add_f32 v[24:25], v[68:69], v[24:25]
	s_mov_b32 s3, s36
	v_pk_add_f32 v[24:25], v[76:77], v[24:25]
	v_mov_b32_e32 v13, v21
	v_pk_add_f32 v[66:67], v[106:107], v[24:25]
	v_pk_mul_f32 v[24:25], v[82:83], s[24:25]
	s_nop 0
	v_pk_fma_f32 v[152:153], v[30:31], s[12:13], v[24:25] neg_lo:[1,0,0] neg_hi:[1,0,0]
	v_pk_fma_f32 v[26:27], v[30:31], s[12:13], v[24:25]
	v_pk_fma_f32 v[24:25], v[30:31], s[12:13], v[24:25] neg_lo:[0,0,1] neg_hi:[0,0,1]
	v_mov_b32_e32 v153, v27
	v_mov_b32_e32 v27, v25
	v_pk_mul_f32 v[24:25], v[84:85], s[40:41]
	s_nop 0
	v_pk_fma_f32 v[154:155], v[34:35], s[14:15], v[24:25] neg_lo:[1,0,0] neg_hi:[1,0,0]
	v_pk_fma_f32 v[68:69], v[34:35], s[14:15], v[24:25]
	v_pk_fma_f32 v[24:25], v[34:35], s[14:15], v[24:25] neg_lo:[0,0,1] neg_hi:[0,0,1]
	v_mov_b32_e32 v155, v69
	v_mov_b32_e32 v69, v25
	;; [unrolled: 7-line block ×6, first 2 shown]
	v_pk_add_f32 v[24:25], v[26:27], v[0:1]
	s_nop 0
	v_pk_add_f32 v[24:25], v[68:69], v[24:25]
	s_nop 0
	v_pk_add_f32 v[24:25], v[76:77], v[24:25]
	s_nop 0
	v_pk_add_f32 v[24:25], v[106:107], v[24:25]
	s_nop 0
	v_pk_add_f32 v[24:25], v[108:109], v[24:25]
	s_nop 0
	v_pk_add_f32 v[68:69], v[164:165], v[24:25]
	ds_read_b64 v[164:165], v172 offset:10400
	ds_read2_b64 v[24:27], v184 offset0:84 offset1:188
	ds_read2_b64 v[106:109], v55 offset0:4 offset1:108
	s_waitcnt lgkmcnt(0)
	; wave barrier
	s_waitcnt lgkmcnt(0)
	ds_write2_b64 v11, v[66:67], v[68:69] offset0:4 offset1:30
	v_pk_mul_f32 v[66:67], v[94:95], v[14:15] op_sel_hi:[1,0]
	v_pk_mul_f32 v[68:69], v[26:27], v[78:79] op_sel:[0,1]
	s_waitcnt vmcnt(1)
	v_mov_b32_e32 v14, v101
	v_pk_fma_f32 v[64:65], v[94:95], v[80:81], v[66:67] op_sel:[0,0,1] op_sel_hi:[1,1,0] neg_lo:[0,0,1] neg_hi:[0,0,1]
	v_pk_fma_f32 v[76:77], v[94:95], v[80:81], v[66:67] op_sel:[0,0,1] op_sel_hi:[1,0,0]
	v_pk_fma_f32 v[66:67], v[26:27], v[78:79], v[68:69] op_sel:[0,0,1] op_sel_hi:[1,1,0] neg_lo:[0,0,1] neg_hi:[0,0,1]
	v_pk_fma_f32 v[78:79], v[26:27], v[78:79], v[68:69] op_sel:[0,0,1] op_sel_hi:[1,0,0]
	v_pk_mul_f32 v[26:27], v[24:25], v[14:15] op_sel_hi:[1,0]
	v_mov_b32_e32 v14, v99
	v_pk_fma_f32 v[68:69], v[24:25], v[100:101], v[26:27] op_sel:[0,0,1] op_sel_hi:[1,1,0] neg_lo:[0,0,1] neg_hi:[0,0,1]
	v_pk_fma_f32 v[80:81], v[24:25], v[100:101], v[26:27] op_sel:[0,0,1] op_sel_hi:[1,0,0]
	v_pk_mul_f32 v[24:25], v[108:109], v[14:15]
	v_mov_b32_e32 v14, v109
	v_pk_mul_f32 v[26:27], v[108:109], v[98:99]
	v_pk_fma_f32 v[24:25], v[14:15], v[98:99], v[24:25]
	v_mov_b32_e32 v14, v27
	v_pk_fma_f32 v[26:27], v[108:109], v[98:99], v[14:15] neg_lo:[0,0,1] neg_hi:[0,0,1]
	v_mov_b32_e32 v95, v2
	s_waitcnt vmcnt(0)
	v_pk_mul_f32 v[98:99], v[2:3], v[102:103] op_sel:[1,0] op_sel_hi:[0,1]
	v_mov_b32_e32 v2, v107
	v_pk_mul_f32 v[100:101], v[106:107], v[104:105] op_sel:[1,0] op_sel_hi:[0,1]
	v_mov_b32_e32 v107, v102
	v_mov_b32_e32 v102, v105
	;; [unrolled: 1-line block ×4, first 2 shown]
	v_pk_mul_f32 v[2:3], v[2:3], v[102:103]
	v_pk_mul_f32 v[102:103], v[164:165], v[92:93] op_sel:[1,0] op_sel_hi:[0,1]
	v_pk_fma_f32 v[2:3], v[94:95], v[106:107], v[2:3] neg_lo:[0,0,1] neg_hi:[0,0,1]
	v_mov_b32_e32 v95, v164
	v_mov_b32_e32 v164, v97
	;; [unrolled: 1-line block ×5, first 2 shown]
	v_pk_mul_f32 v[96:97], v[96:97], v[90:91] op_sel:[1,0] op_sel_hi:[0,1]
	v_mov_b32_e32 v104, v90
	v_pk_mul_f32 v[90:91], v[164:165], v[92:93]
	v_add_f32_e32 v92, v89, v0
	v_add_f32_e32 v93, v117, v1
	v_pk_fma_f32 v[90:91], v[94:95], v[104:105], v[90:91] neg_lo:[0,0,1] neg_hi:[0,0,1]
	v_pk_add_f32 v[92:93], v[92:93], v[110:111]
	v_pk_mul_f32 v[94:95], v[82:83], s[54:55]
	v_pk_add_f32 v[92:93], v[92:93], v[112:113]
	v_pk_fma_f32 v[104:105], v[30:31], s[36:37], v[94:95] neg_lo:[1,0,0] neg_hi:[1,0,0]
	v_pk_fma_f32 v[106:107], v[30:31], s[36:37], v[94:95]
	v_pk_mul_f32 v[108:109], v[84:85], s[24:25]
	v_pk_add_f32 v[92:93], v[92:93], v[114:115]
	v_mov_b32_e32 v105, v107
	v_pk_fma_f32 v[110:111], v[34:35], s[12:13], v[108:109] neg_lo:[1,0,0] neg_hi:[1,0,0]
	v_pk_fma_f32 v[112:113], v[34:35], s[12:13], v[108:109]
	v_pk_add_f32 v[92:93], v[92:93], v[118:119]
	v_pk_add_f32 v[104:105], v[104:105], v[0:1]
	v_mov_b32_e32 v111, v113
	v_pk_add_f32 v[92:93], v[92:93], v[120:121]
	v_pk_add_f32 v[104:105], v[110:111], v[104:105]
	v_pk_mul_f32 v[110:111], v[86:87], s[42:43]
	v_pk_add_f32 v[92:93], v[92:93], v[130:131]
	v_pk_fma_f32 v[114:115], v[62:63], s[10:11], v[110:111] neg_lo:[1,0,0] neg_hi:[1,0,0]
	v_pk_fma_f32 v[118:119], v[62:63], s[10:11], v[110:111]
	v_pk_add_f32 v[92:93], v[92:93], v[128:129]
	v_mov_b32_e32 v115, v119
	v_pk_add_f32 v[92:93], v[92:93], v[126:127]
	v_pk_add_f32 v[104:105], v[114:115], v[104:105]
	v_pk_mul_f32 v[114:115], v[74:75], s[40:41]
	v_pk_add_f32 v[92:93], v[92:93], v[122:123]
	v_pk_fma_f32 v[120:121], v[18:19], s[14:15], v[114:115] neg_lo:[1,0,0] neg_hi:[1,0,0]
	v_pk_fma_f32 v[122:123], v[18:19], s[14:15], v[114:115]
	v_pk_add_f32 v[92:93], v[92:93], v[132:133]
	v_mov_b32_e32 v121, v123
	v_pk_add_f32 v[104:105], v[120:121], v[104:105]
	v_pk_mul_f32 v[120:121], v[72:73], s[22:23]
	v_pk_add_f32 v[92:93], v[92:93], v[136:137]
	v_pk_fma_f32 v[124:125], v[22:23], s[16:17], v[120:121] neg_lo:[1,0,0] neg_hi:[1,0,0]
	v_pk_fma_f32 v[126:127], v[22:23], s[16:17], v[120:121]
	v_pk_mul_f32 v[132:133], v[84:85], s[46:47]
	v_mov_b32_e32 v125, v127
	v_pk_add_f32 v[104:105], v[124:125], v[104:105]
	v_pk_mul_f32 v[124:125], v[70:71], s[18:19]
	v_pk_fma_f32 v[134:135], v[34:35], s[26:27], v[132:133] neg_lo:[1,0,0] neg_hi:[1,0,0]
	v_pk_fma_f32 v[128:129], v[28:29], s[20:21], v[124:125] neg_lo:[1,0,0] neg_hi:[1,0,0]
	v_pk_fma_f32 v[130:131], v[28:29], s[20:21], v[124:125]
	v_pk_fma_f32 v[136:137], v[34:35], s[26:27], v[132:133]
	v_mov_b32_e32 v129, v131
	v_pk_add_f32 v[104:105], v[128:129], v[104:105]
	ds_write2_b64 v9, v[92:93], v[104:105] offset1:26
	v_pk_add_f32 v[92:93], v[152:153], v[0:1]
	v_pk_add_f32 v[104:105], v[140:141], v[0:1]
	v_pk_add_f32 v[92:93], v[154:155], v[92:93]
	v_pk_add_f32 v[104:105], v[142:143], v[104:105]
	v_pk_add_f32 v[92:93], v[156:157], v[92:93]
	v_pk_add_f32 v[104:105], v[144:145], v[104:105]
	v_pk_add_f32 v[92:93], v[158:159], v[92:93]
	v_pk_add_f32 v[104:105], v[146:147], v[104:105]
	v_pk_add_f32 v[92:93], v[160:161], v[92:93]
	v_pk_add_f32 v[104:105], v[148:149], v[104:105]
	v_pk_add_f32 v[92:93], v[162:163], v[92:93]
	v_pk_add_f32 v[104:105], v[150:151], v[104:105]
	ds_write2_b64 v9, v[92:93], v[104:105] offset0:52 offset1:78
	v_pk_mul_f32 v[92:93], v[82:83], s[40:41]
	v_mov_b32_e32 v135, v137
	v_pk_fma_f32 v[104:105], v[30:31], s[14:15], v[92:93] neg_lo:[1,0,0] neg_hi:[1,0,0]
	v_pk_fma_f32 v[128:129], v[30:31], s[14:15], v[92:93]
	v_pk_mul_f32 v[158:159], v[84:85], s[44:45]
	v_mov_b32_e32 v105, v129
	v_pk_add_f32 v[104:105], v[104:105], v[0:1]
	v_pk_fma_f32 v[160:161], v[34:35], s[34:35], v[158:159] neg_lo:[1,0,0] neg_hi:[1,0,0]
	v_pk_add_f32 v[104:105], v[134:135], v[104:105]
	v_pk_mul_f32 v[134:135], v[86:87], s[38:39]
	v_pk_fma_f32 v[162:163], v[34:35], s[34:35], v[158:159]
	v_pk_fma_f32 v[138:139], v[62:63], s[28:29], v[134:135] neg_lo:[1,0,0] neg_hi:[1,0,0]
	v_pk_fma_f32 v[140:141], v[62:63], s[28:29], v[134:135]
	v_mov_b32_e32 v161, v163
	v_mov_b32_e32 v139, v141
	v_pk_add_f32 v[104:105], v[138:139], v[104:105]
	v_pk_mul_f32 v[138:139], v[74:75], s[42:43]
	v_pk_mul_f32 v[84:85], v[84:85], s[38:39]
	v_pk_fma_f32 v[142:143], v[18:19], s[10:11], v[138:139] neg_lo:[1,0,0] neg_hi:[1,0,0]
	v_pk_fma_f32 v[144:145], v[18:19], s[10:11], v[138:139]
	v_pk_fma_f32 v[192:193], v[34:35], s[28:29], v[84:85]
	v_mov_b32_e32 v143, v145
	v_pk_add_f32 v[104:105], v[142:143], v[104:105]
	v_pk_mul_f32 v[142:143], v[72:73], s[58:59]
	v_mov_b32_e32 v67, v79
	v_pk_fma_f32 v[146:147], v[22:23], s[50:51], v[142:143] neg_lo:[1,0,0] neg_hi:[1,0,0]
	v_pk_fma_f32 v[148:149], v[22:23], s[50:51], v[142:143]
	v_mov_b32_e32 v11, v17
	v_mov_b32_e32 v147, v149
	v_pk_add_f32 v[104:105], v[146:147], v[104:105]
	v_pk_mul_f32 v[146:147], v[70:71], s[56:57]
	s_mov_b32 s54, s13
	v_pk_fma_f32 v[150:151], v[28:29], s[48:49], v[146:147] neg_lo:[1,0,0] neg_hi:[1,0,0]
	v_pk_fma_f32 v[152:153], v[28:29], s[48:49], v[146:147]
	s_mov_b32 s55, s37
	v_mov_b32_e32 v151, v153
	v_pk_add_f32 v[104:105], v[150:151], v[104:105]
	v_pk_mul_f32 v[150:151], v[82:83], s[22:23]
	v_pk_mul_f32 v[82:83], v[82:83], s[18:19]
	v_pk_fma_f32 v[154:155], v[30:31], s[16:17], v[150:151] neg_lo:[1,0,0] neg_hi:[1,0,0]
	v_pk_fma_f32 v[156:157], v[30:31], s[16:17], v[150:151]
	v_mov_b32_e32 v69, v81
	v_mov_b32_e32 v155, v157
	v_pk_add_f32 v[154:155], v[154:155], v[0:1]
	v_mov_b32_e32 v65, v77
	v_pk_add_f32 v[154:155], v[160:161], v[154:155]
	v_pk_mul_f32 v[160:161], v[86:87], s[24:25]
	v_pk_mul_f32 v[86:87], v[86:87], s[22:23]
	v_pk_fma_f32 v[164:165], v[62:63], s[12:13], v[160:161] neg_lo:[1,0,0] neg_hi:[1,0,0]
	v_pk_fma_f32 v[166:167], v[62:63], s[12:13], v[160:161]
	v_pk_fma_f32 v[194:195], v[62:63], s[16:17], v[86:87]
	v_mov_b32_e32 v165, v167
	v_pk_add_f32 v[154:155], v[164:165], v[154:155]
	v_pk_mul_f32 v[164:165], v[74:75], s[58:59]
	v_pk_mul_f32 v[74:75], v[74:75], s[56:57]
	v_pk_fma_f32 v[168:169], v[18:19], s[50:51], v[164:165] neg_lo:[1,0,0] neg_hi:[1,0,0]
	v_pk_fma_f32 v[170:171], v[18:19], s[50:51], v[164:165]
	v_pk_fma_f32 v[196:197], v[18:19], s[48:49], v[74:75]
	;; [unrolled: 7-line block ×4, first 2 shown]
	v_mov_b32_e32 v189, v191
	v_pk_add_f32 v[154:155], v[188:189], v[154:155]
	ds_write2_b64 v9, v[104:105], v[154:155] offset0:104 offset1:130
	v_pk_fma_f32 v[104:105], v[30:31], s[20:21], v[82:83] neg_lo:[1,0,0] neg_hi:[1,0,0]
	v_pk_fma_f32 v[154:155], v[30:31], s[20:21], v[82:83]
	v_pk_fma_f32 v[188:189], v[34:35], s[28:29], v[84:85] neg_lo:[1,0,0] neg_hi:[1,0,0]
	v_mov_b32_e32 v105, v155
	v_mov_b32_e32 v189, v193
	v_pk_add_f32 v[104:105], v[104:105], v[0:1]
	v_pk_fma_f32 v[82:83], v[30:31], s[20:21], v[82:83] neg_lo:[0,0,1] neg_hi:[0,0,1]
	v_pk_add_f32 v[104:105], v[188:189], v[104:105]
	v_pk_fma_f32 v[188:189], v[62:63], s[16:17], v[86:87] neg_lo:[1,0,0] neg_hi:[1,0,0]
	v_mov_b32_e32 v155, v83
	v_mov_b32_e32 v189, v195
	v_pk_add_f32 v[104:105], v[188:189], v[104:105]
	v_pk_fma_f32 v[188:189], v[18:19], s[48:49], v[74:75] neg_lo:[1,0,0] neg_hi:[1,0,0]
	v_pk_fma_f32 v[82:83], v[34:35], s[28:29], v[84:85] neg_lo:[0,0,1] neg_hi:[0,0,1]
	v_mov_b32_e32 v189, v197
	v_pk_add_f32 v[104:105], v[188:189], v[104:105]
	v_pk_fma_f32 v[188:189], v[22:23], s[14:15], v[72:73] neg_lo:[1,0,0] neg_hi:[1,0,0]
	v_mov_b32_e32 v193, v83
	v_mov_b32_e32 v189, v199
	v_pk_add_f32 v[104:105], v[188:189], v[104:105]
	v_pk_fma_f32 v[188:189], v[28:29], s[34:35], v[70:71] neg_lo:[1,0,0] neg_hi:[1,0,0]
	v_pk_fma_f32 v[70:71], v[28:29], s[34:35], v[70:71] neg_lo:[0,0,1] neg_hi:[0,0,1]
	v_mov_b32_e32 v189, v201
	v_pk_fma_f32 v[82:83], v[62:63], s[16:17], v[86:87] neg_lo:[0,0,1] neg_hi:[0,0,1]
	v_mov_b32_e32 v201, v71
	v_pk_add_f32 v[70:71], v[154:155], v[0:1]
	v_mov_b32_e32 v195, v83
	v_pk_fma_f32 v[74:75], v[18:19], s[48:49], v[74:75] neg_lo:[0,0,1] neg_hi:[0,0,1]
	v_pk_add_f32 v[70:71], v[192:193], v[70:71]
	v_mov_b32_e32 v197, v75
	v_pk_fma_f32 v[72:73], v[22:23], s[14:15], v[72:73] neg_lo:[0,0,1] neg_hi:[0,0,1]
	v_pk_add_f32 v[70:71], v[194:195], v[70:71]
	v_mov_b32_e32 v199, v73
	v_pk_add_f32 v[70:71], v[196:197], v[70:71]
	v_pk_add_f32 v[104:105], v[188:189], v[104:105]
	;; [unrolled: 1-line block ×3, first 2 shown]
	v_pk_fma_f32 v[72:73], v[30:31], s[14:15], v[92:93] neg_lo:[0,0,1] neg_hi:[0,0,1]
	v_pk_add_f32 v[70:71], v[200:201], v[70:71]
	ds_write2_b64 v9, v[104:105], v[70:71] offset0:156 offset1:182
	v_pk_fma_f32 v[70:71], v[30:31], s[16:17], v[150:151] neg_lo:[0,0,1] neg_hi:[0,0,1]
	v_mov_b32_e32 v129, v73
	v_mov_b32_e32 v157, v71
	v_pk_fma_f32 v[70:71], v[34:35], s[34:35], v[158:159] neg_lo:[0,0,1] neg_hi:[0,0,1]
	v_pk_fma_f32 v[72:73], v[34:35], s[26:27], v[132:133] neg_lo:[0,0,1] neg_hi:[0,0,1]
	v_mov_b32_e32 v163, v71
	v_pk_fma_f32 v[70:71], v[62:63], s[12:13], v[160:161] neg_lo:[0,0,1] neg_hi:[0,0,1]
	v_mov_b32_e32 v137, v73
	;; [unrolled: 2-line block ×6, first 2 shown]
	v_pk_fma_f32 v[72:73], v[22:23], s[50:51], v[142:143] neg_lo:[0,0,1] neg_hi:[0,0,1]
	v_pk_fma_f32 v[30:31], v[30:31], s[36:37], v[94:95] neg_lo:[0,0,1] neg_hi:[0,0,1]
	v_mov_b32_e32 v187, v71
	v_pk_fma_f32 v[70:71], v[28:29], s[14:15], v[184:185] neg_lo:[0,0,1] neg_hi:[0,0,1]
	v_mov_b32_e32 v149, v73
	;; [unrolled: 2-line block ×4, first 2 shown]
	v_pk_add_f32 v[70:71], v[156:157], v[0:1]
	v_mov_b32_e32 v153, v73
	v_pk_add_f32 v[72:73], v[128:129], v[0:1]
	v_pk_add_f32 v[0:1], v[106:107], v[0:1]
	v_mov_b32_e32 v113, v31
	v_pk_fma_f32 v[30:31], v[62:63], s[10:11], v[110:111] neg_lo:[0,0,1] neg_hi:[0,0,1]
	v_pk_add_f32 v[0:1], v[112:113], v[0:1]
	v_mov_b32_e32 v119, v31
	v_pk_fma_f32 v[18:19], v[18:19], s[14:15], v[114:115] neg_lo:[0,0,1] neg_hi:[0,0,1]
	;; [unrolled: 3-line block ×4, first 2 shown]
	v_pk_add_f32 v[70:71], v[162:163], v[70:71]
	v_pk_add_f32 v[72:73], v[136:137], v[72:73]
	;; [unrolled: 1-line block ×3, first 2 shown]
	v_mov_b32_e32 v131, v19
	v_pk_add_f32 v[70:71], v[166:167], v[70:71]
	v_pk_add_f32 v[72:73], v[140:141], v[72:73]
	;; [unrolled: 1-line block ×5, first 2 shown]
	ds_write_b64 v9, v[0:1] offset:2496
	v_mov_b32_e32 v0, v100
	v_mov_b32_e32 v1, v98
	;; [unrolled: 1-line block ×3, first 2 shown]
	v_pk_add_f32 v[70:71], v[186:187], v[70:71]
	v_pk_add_f32 v[72:73], v[148:149], v[72:73]
	v_pk_add_f32 v[22:23], v[0:1], v[98:99]
	v_mov_b32_e32 v0, v96
	v_mov_b32_e32 v1, v102
	;; [unrolled: 1-line block ×3, first 2 shown]
	v_pk_add_f32 v[70:71], v[190:191], v[70:71]
	v_pk_add_f32 v[72:73], v[152:153], v[72:73]
	;; [unrolled: 1-line block ×3, first 2 shown]
	ds_write2_b64 v9, v[70:71], v[72:73] offset0:208 offset1:234
	v_mov_b32_e32 v30, v3
	v_mov_b32_e32 v31, v23
	;; [unrolled: 1-line block ×5, first 2 shown]
	v_pk_add_f32 v[14:15], v[30:31], v[70:71] neg_lo:[0,1] neg_hi:[0,1]
	v_pk_add_f32 v[18:19], v[22:23], v[28:29] neg_lo:[0,1] neg_hi:[0,1]
	v_pk_add_f32 v[0:1], v[22:23], v[28:29]
	v_mov_b32_e32 v35, v22
	v_mov_b32_e32 v34, v2
	;; [unrolled: 1-line block ×4, first 2 shown]
	v_pk_add_f32 v[22:23], v[2:3], v[90:91]
	v_pk_add_f32 v[82:83], v[2:3], v[90:91] neg_lo:[0,1] neg_hi:[0,1]
	v_pk_mul_f32 v[2:3], v[14:15], s[36:37]
	v_mov_b32_e32 v0, v14
	v_mov_b32_e32 v79, v2
	v_pk_add_f32 v[2:3], v[34:35], v[72:73]
	v_pk_mul_f32 v[16:17], v[82:83], s[12:13]
	v_pk_mul_f32 v[84:85], v[18:19], s[2:3]
	v_mov_b32_e32 v2, v82
	v_mov_b32_e32 v81, v16
	v_pk_fma_f32 v[16:17], v[22:23], s[54:55], v[84:85] neg_lo:[0,0,1] neg_hi:[0,0,1]
	v_pk_fma_f32 v[20:21], v[0:1], s[36:37], v[78:79]
	v_pk_fma_f32 v[28:29], v[2:3], s[12:13], v[80:81]
	v_mov_b32_e32 v20, v17
	v_mov_b32_e32 v17, v29
	v_pk_add_f32 v[20:21], v[20:21], v[32:33]
	v_pk_add_f32 v[28:29], v[66:67], v[10:11]
	;; [unrolled: 1-line block ×4, first 2 shown]
	v_mov_b32_e32 v20, v26
	v_pk_add_f32 v[16:17], v[16:17], v[34:35]
	v_mov_b32_e32 v21, v24
	v_pk_add_f32 v[16:17], v[16:17], v[20:21]
	v_pk_add_f32 v[34:35], v[64:65], v[12:13]
	;; [unrolled: 1-line block ×3, first 2 shown]
	v_pk_add_f32 v[30:31], v[66:67], v[10:11] neg_lo:[0,1] neg_hi:[0,1]
	v_pk_add_f32 v[16:17], v[16:17], v[66:67]
	v_pk_add_f32 v[62:63], v[68:69], v[8:9]
	;; [unrolled: 1-line block ×3, first 2 shown]
	v_pk_add_f32 v[64:65], v[64:65], v[12:13] neg_lo:[0,1] neg_hi:[0,1]
	v_pk_add_f32 v[12:13], v[16:17], v[12:13]
	v_pk_add_f32 v[66:67], v[68:69], v[8:9] neg_lo:[0,1] neg_hi:[0,1]
	v_pk_add_f32 v[10:11], v[12:13], v[10:11]
	v_mov_b32_e32 v12, v35
	v_pk_add_f32 v[8:9], v[10:11], v[8:9]
	v_mov_b32_e32 v10, v6
	v_mov_b32_e32 v11, v4
	v_pk_add_f32 v[8:9], v[8:9], v[10:11]
	v_mov_b32_e32 v10, v30
	v_pk_add_f32 v[8:9], v[8:9], v[72:73]
	;; [unrolled: 2-line block ×3, first 2 shown]
	v_mov_b32_e32 v13, v64
	v_pk_mul_f32 v[8:9], v[10:11], s[16:17]
	v_mov_b32_e32 v16, v65
	v_mov_b32_e32 v17, v31
	s_mov_b32 s56, s20
	s_mov_b32 s57, s16
	v_mov_b32_e32 v15, v8
	v_mov_b32_e32 v8, v34
	;; [unrolled: 1-line block ×3, first 2 shown]
	s_mov_b32 s2, s21
	s_mov_b32 s3, s17
	v_pk_mul_f32 v[20:21], v[16:17], s[56:57]
	v_pk_mul_f32 v[16:17], v[12:13], s[18:19]
	v_pk_fma_f32 v[70:71], v[8:9], s[2:3], v[20:21] neg_lo:[0,0,1] neg_hi:[0,0,1]
	v_pk_fma_f32 v[8:9], v[8:9], s[2:3], v[20:21]
	v_mov_b32_e32 v21, v16
	v_pk_add_f32 v[74:75], v[26:27], v[6:7]
	v_pk_add_f32 v[6:7], v[26:27], v[6:7] neg_lo:[0,1] neg_hi:[0,1]
	v_pk_add_f32 v[76:77], v[24:25], v[4:5] neg_lo:[0,1] neg_hi:[0,1]
	v_pk_add_f32 v[4:5], v[24:25], v[4:5]
	v_pk_fma_f32 v[72:73], v[10:11], s[16:17], v[14:15]
	v_pk_fma_f32 v[20:21], v[12:13], s[18:19], v[20:21]
	v_mov_b32_e32 v7, v4
	v_mov_b32_e32 v72, v71
	;; [unrolled: 1-line block ×3, first 2 shown]
	v_pk_mul_f32 v[20:21], v[6:7], s[10:11]
	v_mov_b32_e32 v24, v67
	v_mov_b32_e32 v25, v76
	s_mov_b32 s56, s14
	s_mov_b32 s57, s10
	v_mov_b32_e32 v5, v20
	v_mov_b32_e32 v20, v62
	;; [unrolled: 1-line block ×3, first 2 shown]
	s_mov_b32 s2, s15
	s_mov_b32 s3, s11
	v_pk_mul_f32 v[24:25], v[24:25], s[56:57]
	v_pk_fma_f32 v[26:27], v[6:7], s[10:11], v[4:5]
	v_pk_fma_f32 v[90:91], v[20:21], s[2:3], v[24:25] neg_lo:[0,0,1] neg_hi:[0,0,1]
	v_mov_b32_e32 v119, v14
	v_mov_b32_e32 v26, v91
	v_pk_add_f32 v[86:87], v[26:27], v[86:87]
	v_mov_b32_e32 v26, v66
	v_mov_b32_e32 v27, v63
	v_pk_mul_f32 v[92:93], v[26:27], s[14:15]
	v_mov_b32_e32 v118, v23
	v_mov_b32_e32 v17, v92
	v_pk_fma_f32 v[92:93], v[26:27], s[14:15], v[16:17]
	v_mov_b32_e32 v14, v19
	v_mov_b32_e32 v91, v93
	v_pk_add_f32 v[86:87], v[90:91], v[86:87]
	v_pk_mul_f32 v[92:93], v[118:119], s[42:43]
	v_pk_add_f32 v[72:73], v[72:73], v[86:87]
	v_pk_fma_f32 v[90:91], v[14:15], s[10:11], v[92:93] neg_lo:[1,0,0] neg_hi:[1,0,0]
	v_pk_add_f32 v[70:71], v[70:71], v[72:73]
	v_mov_b32_e32 v72, 3
	v_lshlrev_b32_sdwa v72, v72, v88 dst_sel:DWORD dst_unused:UNUSED_PAD src0_sel:DWORD src1_sel:BYTE_0
	v_add3_u32 v60, 0, v60, v72
	ds_write2_b64 v60, v[68:69], v[70:71] offset1:26
	v_pk_fma_f32 v[68:69], v[22:23], s[54:55], v[84:85]
	v_mov_b32_e32 v23, v82
	v_pk_fma_f32 v[72:73], v[0:1], s[36:37], v[78:79] neg_lo:[0,0,1] neg_hi:[0,0,1]
	v_mov_b32_e32 v0, v19
	v_pk_mul_f32 v[84:85], v[118:119], s[24:25]
	v_pk_fma_f32 v[70:71], v[2:3], s[12:13], v[80:81] neg_lo:[0,0,1] neg_hi:[0,0,1]
	v_pk_fma_f32 v[78:79], v[14:15], s[12:13], v[84:85] neg_lo:[1,0,0] neg_hi:[1,0,0]
	v_pk_fma_f32 v[82:83], v[0:1], s[12:13], v[84:85]
	v_mov_b32_e32 v2, v18
	v_pk_mul_f32 v[88:89], v[22:23], s[40:41]
	v_mov_b32_e32 v79, v83
	v_pk_fma_f32 v[80:81], v[18:19], s[14:15], v[88:89] neg_lo:[1,0,0] neg_hi:[1,0,0]
	v_pk_fma_f32 v[86:87], v[2:3], s[14:15], v[88:89]
	v_pk_add_f32 v[78:79], v[78:79], v[32:33]
	v_mov_b32_e32 v81, v87
	v_pk_add_f32 v[120:121], v[80:81], v[78:79]
	v_mov_b32_e32 v80, v76
	v_mov_b32_e32 v81, v6
	;; [unrolled: 1-line block ×4, first 2 shown]
	s_mov_b32 s54, s21
	v_pk_mul_f32 v[80:81], v[80:81], s[20:21] op_sel_hi:[1,0]
	v_pk_mul_f32 v[94:95], v[22:23], s[18:19]
	v_pk_fma_f32 v[96:97], v[78:79], s[54:55], v[80:81] op_sel_hi:[1,0,1]
	v_pk_fma_f32 v[122:123], v[78:79], s[54:55], v[80:81] op_sel_hi:[1,0,1] neg_lo:[0,0,1] neg_hi:[0,0,1]
	v_pk_fma_f32 v[78:79], v[0:1], s[10:11], v[92:93]
	v_pk_fma_f32 v[98:99], v[18:19], s[20:21], v[94:95] neg_lo:[1,0,0] neg_hi:[1,0,0]
	v_mov_b32_e32 v91, v79
	v_pk_fma_f32 v[80:81], v[2:3], s[20:21], v[94:95]
	v_mov_b32_e32 v75, v6
	v_mov_b32_e32 v99, v81
	v_pk_add_f32 v[90:91], v[90:91], v[32:33]
	v_mov_b32_e32 v101, v4
	v_mov_b32_e32 v100, v76
	v_pk_mul_f32 v[102:103], v[74:75], s[52:53]
	v_pk_add_f32 v[98:99], v[98:99], v[90:91]
	v_pk_fma_f32 v[104:105], v[76:77], s[30:31], v[102:103] neg_lo:[1,0,0] neg_hi:[1,0,0]
	v_pk_fma_f32 v[90:91], v[100:101], s[30:31], v[102:103]
	s_mov_b32 s42, s37
	v_mov_b32_e32 v105, v91
	v_pk_add_f32 v[106:107], v[104:105], v[98:99]
	v_pk_mul_f32 v[98:99], v[66:67], s[28:29] op_sel:[1,0] op_sel_hi:[0,0]
	v_pk_fma_f32 v[104:105], v[62:63], s[42:43], v[98:99] op_sel_hi:[1,0,1] neg_lo:[0,0,1] neg_hi:[0,0,1]
	v_pk_fma_f32 v[98:99], v[62:63], s[42:43], v[98:99] op_sel_hi:[1,0,1]
	v_mov_b32_e32 v108, v104
	v_mov_b32_e32 v109, v99
	v_pk_add_f32 v[110:111], v[108:109], v[106:107]
	s_mov_b32 s36, s13
	v_pk_mul_f32 v[106:107], v[30:31], s[12:13] op_sel:[1,0] op_sel_hi:[0,0]
	v_pk_fma_f32 v[108:109], v[28:29], s[36:37], v[106:107] op_sel_hi:[1,0,1] neg_lo:[0,0,1] neg_hi:[0,0,1]
	v_pk_fma_f32 v[106:107], v[28:29], s[36:37], v[106:107] op_sel_hi:[1,0,1]
	v_mov_b32_e32 v112, v108
	v_mov_b32_e32 v113, v107
	v_pk_add_f32 v[114:115], v[112:113], v[110:111]
	s_mov_b32 s52, s17
	v_pk_mul_f32 v[110:111], v[64:65], s[16:17] op_sel:[1,0] op_sel_hi:[0,0]
	v_pk_fma_f32 v[112:113], v[34:35], s[52:53], v[110:111] op_sel_hi:[1,0,1] neg_lo:[0,0,1] neg_hi:[0,0,1]
	v_pk_fma_f32 v[110:111], v[34:35], s[52:53], v[110:111] op_sel_hi:[1,0,1]
	v_mov_b32_e32 v124, v112
	v_mov_b32_e32 v125, v111
	v_pk_add_f32 v[124:125], v[124:125], v[114:115]
	v_mov_b32_e32 v115, v123
	v_mov_b32_e32 v123, v97
	v_pk_add_f32 v[120:121], v[122:123], v[120:121]
	v_pk_mul_f32 v[122:123], v[66:67], s[26:27] op_sel:[1,0] op_sel_hi:[0,0]
	v_pk_fma_f32 v[126:127], v[62:63], s[52:53], v[122:123] op_sel_hi:[1,0,1]
	v_pk_fma_f32 v[122:123], v[62:63], s[52:53], v[122:123] op_sel_hi:[1,0,1] neg_lo:[0,0,1] neg_hi:[0,0,1]
	s_mov_b32 s52, s11
	v_mov_b32_e32 v129, v123
	v_mov_b32_e32 v123, v127
	v_pk_add_f32 v[120:121], v[122:123], v[120:121]
	v_pk_mul_f32 v[122:123], v[30:31], s[34:35] op_sel:[1,0] op_sel_hi:[0,0]
	v_pk_fma_f32 v[130:131], v[28:29], s[52:53], v[122:123] op_sel_hi:[1,0,1]
	v_pk_fma_f32 v[122:123], v[28:29], s[52:53], v[122:123] op_sel_hi:[1,0,1] neg_lo:[0,0,1] neg_hi:[0,0,1]
	v_pk_mul_f32 v[136:137], v[22:23], s[46:47]
	v_mov_b32_e32 v127, v123
	v_mov_b32_e32 v123, v131
	v_pk_add_f32 v[120:121], v[122:123], v[120:121]
	v_pk_mul_f32 v[122:123], v[64:65], s[28:29] op_sel:[1,0] op_sel_hi:[0,0]
	v_pk_fma_f32 v[132:133], v[34:35], s[42:43], v[122:123] op_sel_hi:[1,0,1]
	v_pk_fma_f32 v[122:123], v[34:35], s[42:43], v[122:123] op_sel_hi:[1,0,1] neg_lo:[0,0,1] neg_hi:[0,0,1]
	v_pk_fma_f32 v[138:139], v[18:19], s[26:27], v[136:137] neg_lo:[1,0,0] neg_hi:[1,0,0]
	v_mov_b32_e32 v135, v123
	v_mov_b32_e32 v123, v133
	v_pk_add_f32 v[120:121], v[122:123], v[120:121]
	ds_write2_b64 v60, v[120:121], v[124:125] offset0:52 offset1:78
	v_pk_mul_f32 v[120:121], v[118:119], s[40:41]
	v_pk_fma_f32 v[140:141], v[2:3], s[26:27], v[136:137]
	v_pk_fma_f32 v[122:123], v[14:15], s[14:15], v[120:121] neg_lo:[1,0,0] neg_hi:[1,0,0]
	v_pk_fma_f32 v[124:125], v[0:1], s[14:15], v[120:121]
	v_mov_b32_e32 v139, v141
	v_mov_b32_e32 v123, v125
	v_pk_add_f32 v[122:123], v[122:123], v[32:33]
	v_pk_mul_f32 v[162:163], v[22:23], s[44:45]
	v_pk_add_f32 v[122:123], v[138:139], v[122:123]
	v_pk_mul_f32 v[138:139], v[74:75], s[38:39]
	v_pk_fma_f32 v[164:165], v[18:19], s[34:35], v[162:163] neg_lo:[1,0,0] neg_hi:[1,0,0]
	v_pk_fma_f32 v[142:143], v[76:77], s[28:29], v[138:139] neg_lo:[1,0,0] neg_hi:[1,0,0]
	v_pk_fma_f32 v[144:145], v[100:101], s[28:29], v[138:139]
	v_pk_fma_f32 v[166:167], v[2:3], s[34:35], v[162:163]
	v_mov_b32_e32 v143, v145
	v_pk_add_f32 v[122:123], v[142:143], v[122:123]
	v_pk_mul_f32 v[142:143], v[66:67], s[10:11] op_sel:[1,0] op_sel_hi:[0,0]
	v_pk_fma_f32 v[146:147], v[62:63], s[52:53], v[142:143] op_sel_hi:[1,0,1] neg_lo:[0,0,1] neg_hi:[0,0,1]
	v_pk_fma_f32 v[142:143], v[62:63], s[52:53], v[142:143] op_sel_hi:[1,0,1]
	v_mov_b32_e32 v148, v146
	v_mov_b32_e32 v149, v143
	v_pk_add_f32 v[122:123], v[148:149], v[122:123]
	v_pk_mul_f32 v[148:149], v[30:31], s[50:51] op_sel:[1,0] op_sel_hi:[0,0]
	v_pk_fma_f32 v[150:151], v[28:29], s[54:55], v[148:149] op_sel_hi:[1,0,1] neg_lo:[0,0,1] neg_hi:[0,0,1]
	v_pk_fma_f32 v[148:149], v[28:29], s[54:55], v[148:149] op_sel_hi:[1,0,1]
	v_mov_b32_e32 v152, v150
	;; [unrolled: 6-line block ×3, first 2 shown]
	v_mov_b32_e32 v157, v153
	v_pk_add_f32 v[122:123], v[156:157], v[122:123]
	v_pk_mul_f32 v[156:157], v[118:119], s[22:23]
	v_mov_b32_e32 v165, v167
	v_pk_fma_f32 v[158:159], v[14:15], s[16:17], v[156:157] neg_lo:[1,0,0] neg_hi:[1,0,0]
	v_pk_fma_f32 v[160:161], v[0:1], s[16:17], v[156:157]
	v_pk_mul_f32 v[22:23], v[22:23], s[38:39]
	v_mov_b32_e32 v159, v161
	v_pk_add_f32 v[158:159], v[158:159], v[32:33]
	v_pk_fma_f32 v[18:19], v[18:19], s[28:29], v[22:23] neg_lo:[1,0,0] neg_hi:[1,0,0]
	v_pk_add_f32 v[158:159], v[164:165], v[158:159]
	v_pk_mul_f32 v[164:165], v[74:75], s[24:25]
	s_mov_b32 s24, s15
	v_pk_fma_f32 v[168:169], v[76:77], s[12:13], v[164:165] neg_lo:[1,0,0] neg_hi:[1,0,0]
	v_pk_fma_f32 v[170:171], v[100:101], s[12:13], v[164:165]
	v_pk_mul_f32 v[74:75], v[74:75], s[22:23]
	v_mov_b32_e32 v169, v171
	v_pk_add_f32 v[158:159], v[168:169], v[158:159]
	v_pk_mul_f32 v[168:169], v[66:67], s[50:51] op_sel:[1,0] op_sel_hi:[0,0]
	v_pk_fma_f32 v[184:185], v[62:63], s[54:55], v[168:169] op_sel_hi:[1,0,1] neg_lo:[0,0,1] neg_hi:[0,0,1]
	v_pk_fma_f32 v[168:169], v[62:63], s[54:55], v[168:169] op_sel_hi:[1,0,1]
	v_mov_b32_e32 v186, v184
	v_mov_b32_e32 v187, v169
	v_pk_add_f32 v[158:159], v[186:187], v[158:159]
	v_pk_mul_f32 v[186:187], v[30:31], s[28:29] op_sel:[1,0] op_sel_hi:[0,0]
	v_pk_fma_f32 v[188:189], v[28:29], s[42:43], v[186:187] op_sel_hi:[1,0,1] neg_lo:[0,0,1] neg_hi:[0,0,1]
	v_pk_fma_f32 v[186:187], v[28:29], s[42:43], v[186:187] op_sel_hi:[1,0,1]
	v_mov_b32_e32 v190, v188
	;; [unrolled: 6-line block ×3, first 2 shown]
	v_mov_b32_e32 v195, v191
	v_pk_add_f32 v[158:159], v[194:195], v[158:159]
	v_pk_mul_f32 v[64:65], v[64:65], s[34:35] op_sel:[1,0] op_sel_hi:[0,0]
	ds_write2_b64 v60, v[122:123], v[158:159] offset0:104 offset1:130
	v_pk_fma_f32 v[122:123], v[34:35], s[52:53], v[64:65] op_sel_hi:[1,0,1] neg_lo:[0,0,1] neg_hi:[0,0,1]
	v_pk_fma_f32 v[34:35], v[34:35], s[52:53], v[64:65] op_sel_hi:[1,0,1]
	v_pk_mul_f32 v[64:65], v[66:67], s[48:49] op_sel:[1,0] op_sel_hi:[0,0]
	v_pk_mul_f32 v[30:31], v[30:31], s[14:15] op_sel:[1,0] op_sel_hi:[0,0]
	v_pk_fma_f32 v[66:67], v[62:63], s[36:37], v[64:65] op_sel_hi:[1,0,1] neg_lo:[0,0,1] neg_hi:[0,0,1]
	v_pk_fma_f32 v[62:63], v[62:63], s[36:37], v[64:65] op_sel_hi:[1,0,1]
	v_pk_fma_f32 v[64:65], v[28:29], s[24:25], v[30:31] op_sel_hi:[1,0,1] neg_lo:[0,0,1] neg_hi:[0,0,1]
	v_pk_fma_f32 v[28:29], v[28:29], s[24:25], v[30:31] op_sel_hi:[1,0,1]
	v_pk_mul_f32 v[30:31], v[118:119], s[18:19]
	v_pk_fma_f32 v[194:195], v[2:3], s[28:29], v[22:23]
	v_pk_fma_f32 v[118:119], v[14:15], s[20:21], v[30:31] neg_lo:[1,0,0] neg_hi:[1,0,0]
	v_pk_fma_f32 v[158:159], v[0:1], s[20:21], v[30:31]
	v_pk_fma_f32 v[30:31], v[0:1], s[20:21], v[30:31] neg_lo:[0,0,1] neg_hi:[0,0,1]
	v_mov_b32_e32 v119, v159
	v_mov_b32_e32 v19, v195
	v_pk_add_f32 v[118:119], v[118:119], v[32:33]
	v_mov_b32_e32 v159, v31
	v_pk_fma_f32 v[22:23], v[2:3], s[28:29], v[22:23] neg_lo:[0,0,1] neg_hi:[0,0,1]
	v_pk_add_f32 v[18:19], v[18:19], v[118:119]
	v_pk_fma_f32 v[76:77], v[76:77], s[16:17], v[74:75] neg_lo:[1,0,0] neg_hi:[1,0,0]
	v_pk_fma_f32 v[118:119], v[100:101], s[16:17], v[74:75]
	v_mov_b32_e32 v195, v23
	v_pk_add_f32 v[22:23], v[158:159], v[32:33]
	v_pk_fma_f32 v[30:31], v[100:101], s[16:17], v[74:75] neg_lo:[0,0,1] neg_hi:[0,0,1]
	v_mov_b32_e32 v77, v119
	v_pk_add_f32 v[22:23], v[194:195], v[22:23]
	v_mov_b32_e32 v119, v31
	v_pk_add_f32 v[18:19], v[76:77], v[18:19]
	v_mov_b32_e32 v76, v66
	v_mov_b32_e32 v77, v63
	v_mov_b32_e32 v63, v67
	v_pk_add_f32 v[22:23], v[118:119], v[22:23]
	v_pk_add_f32 v[18:19], v[76:77], v[18:19]
	v_mov_b32_e32 v76, v64
	v_mov_b32_e32 v77, v29
	v_mov_b32_e32 v29, v65
	v_pk_add_f32 v[22:23], v[62:63], v[22:23]
	;; [unrolled: 5-line block ×3, first 2 shown]
	v_pk_add_f32 v[18:19], v[76:77], v[18:19]
	v_pk_add_f32 v[22:23], v[34:35], v[22:23]
	ds_write2_b64 v60, v[18:19], v[22:23] offset0:156 offset1:182
	v_pk_fma_f32 v[22:23], v[100:101], s[12:13], v[164:165] neg_lo:[0,0,1] neg_hi:[0,0,1]
	v_pk_fma_f32 v[18:19], v[0:1], s[16:17], v[156:157] neg_lo:[0,0,1] neg_hi:[0,0,1]
	v_mov_b32_e32 v171, v23
	v_pk_fma_f32 v[22:23], v[0:1], s[14:15], v[120:121] neg_lo:[0,0,1] neg_hi:[0,0,1]
	v_mov_b32_e32 v161, v19
	;; [unrolled: 2-line block ×4, first 2 shown]
	v_pk_add_f32 v[18:19], v[160:161], v[32:33]
	v_mov_b32_e32 v141, v23
	v_pk_add_f32 v[22:23], v[124:125], v[32:33]
	v_pk_fma_f32 v[28:29], v[100:101], s[28:29], v[138:139] neg_lo:[0,0,1] neg_hi:[0,0,1]
	v_pk_add_f32 v[18:19], v[166:167], v[18:19]
	v_pk_add_f32 v[22:23], v[140:141], v[22:23]
	v_mov_b32_e32 v145, v29
	v_mov_b32_e32 v169, v185
	v_pk_add_f32 v[18:19], v[170:171], v[18:19]
	v_mov_b32_e32 v143, v147
	v_pk_add_f32 v[22:23], v[144:145], v[22:23]
	;; [unrolled: 2-line block ×6, first 2 shown]
	v_pk_add_f32 v[18:19], v[190:191], v[18:19]
	v_pk_add_f32 v[22:23], v[152:153], v[22:23]
	ds_write2_b64 v60, v[18:19], v[22:23] offset0:208 offset1:234
	v_pk_fma_f32 v[18:19], v[0:1], s[12:13], v[84:85] neg_lo:[0,0,1] neg_hi:[0,0,1]
	v_pk_fma_f32 v[0:1], v[0:1], s[10:11], v[92:93] neg_lo:[0,0,1] neg_hi:[0,0,1]
	v_mov_b32_e32 v83, v19
	v_mov_b32_e32 v79, v1
	v_pk_fma_f32 v[0:1], v[2:3], s[20:21], v[94:95] neg_lo:[0,0,1] neg_hi:[0,0,1]
	v_pk_fma_f32 v[18:19], v[2:3], s[14:15], v[88:89] neg_lo:[0,0,1] neg_hi:[0,0,1]
	v_mov_b32_e32 v81, v1
	v_pk_fma_f32 v[0:1], v[100:101], s[30:31], v[102:103] neg_lo:[0,0,1] neg_hi:[0,0,1]
	v_mov_b32_e32 v87, v19
	v_pk_add_f32 v[18:19], v[82:83], v[32:33]
	v_mov_b32_e32 v91, v1
	v_pk_add_f32 v[0:1], v[78:79], v[32:33]
	v_pk_add_f32 v[18:19], v[86:87], v[18:19]
	v_mov_b32_e32 v114, v96
	v_pk_add_f32 v[0:1], v[80:81], v[0:1]
	v_mov_b32_e32 v128, v126
	v_pk_add_f32 v[18:19], v[114:115], v[18:19]
	v_mov_b32_e32 v99, v105
	v_pk_add_f32 v[0:1], v[90:91], v[0:1]
	v_mov_b32_e32 v126, v130
	v_pk_add_f32 v[18:19], v[128:129], v[18:19]
	v_mov_b32_e32 v107, v109
	v_pk_add_f32 v[0:1], v[98:99], v[0:1]
	v_mov_b32_e32 v134, v132
	v_pk_add_f32 v[18:19], v[126:127], v[18:19]
	v_mov_b32_e32 v111, v113
	v_pk_add_f32 v[0:1], v[106:107], v[0:1]
	v_pk_add_f32 v[62:63], v[134:135], v[18:19]
	;; [unrolled: 1-line block ×3, first 2 shown]
	v_add_u32_e32 v2, 0x800, v60
	ds_write2_b64 v2, v[0:1], v[62:63] offset0:4 offset1:30
	v_mov_b32_e32 v1, v16
	v_mov_b32_e32 v72, v69
	v_pk_fma_f32 v[0:1], v[12:13], s[18:19], v[0:1] neg_lo:[1,0,0] neg_hi:[1,0,0]
	v_pk_fma_f32 v[4:5], v[6:7], s[10:11], v[4:5] neg_lo:[0,0,1] neg_hi:[0,0,1]
	v_pk_fma_f32 v[6:7], v[20:21], s[2:3], v[24:25]
	v_pk_add_f32 v[12:13], v[72:73], v[32:33]
	v_mov_b32_e32 v69, v71
	v_pk_fma_f32 v[2:3], v[26:27], s[14:15], v[16:17] neg_lo:[0,0,1] neg_hi:[0,0,1]
	v_pk_add_f32 v[12:13], v[68:69], v[12:13]
	v_mov_b32_e32 v4, v7
	v_pk_fma_f32 v[10:11], v[10:11], s[16:17], v[14:15] neg_lo:[0,0,1] neg_hi:[0,0,1]
	v_pk_add_f32 v[4:5], v[4:5], v[12:13]
	v_mov_b32_e32 v7, v3
	v_pk_add_f32 v[2:3], v[6:7], v[4:5]
	v_mov_b32_e32 v10, v9
	;; [unrolled: 2-line block ×3, first 2 shown]
	v_pk_add_f32 v[64:65], v[8:9], v[2:3]
	ds_write_b64 v60, v[64:65] offset:2496
	s_waitcnt lgkmcnt(0)
	; wave barrier
	s_waitcnt lgkmcnt(0)
	v_lshl_add_u32 v84, v56, 3, 0
	ds_read_b64 v[76:77], v181
	ds_read_b64 v[72:73], v182
	v_lshl_add_u32 v82, v52, 3, 0
	ds_read_b64 v[78:79], v172
	ds_read_b64 v[80:81], v49
	;; [unrolled: 1-line block ×4, first 2 shown]
	ds_read2_b64 v[24:27], v180 offset0:118 offset1:170
	ds_read2_b64 v[28:31], v55 offset0:82 offset1:134
	;; [unrolled: 1-line block ×9, first 2 shown]
	v_sub_u32_e32 v55, 0, v183
	v_sub_u32_e32 v53, 0, v178
	;; [unrolled: 1-line block ×3, first 2 shown]
	v_add_u32_e32 v83, v177, v55
                                        ; implicit-def: $vgpr69
                                        ; implicit-def: $vgpr67
	s_and_saveexec_b64 s[2:3], vcc
	s_cbranch_execz .LBB0_15
; %bb.14:
	ds_read_b64 v[64:65], v172 offset:5200
	ds_read_b64 v[68:69], v172 offset:7904
	ds_read_b64 v[62:63], v83
	ds_read_b64 v[66:67], v172 offset:10608
	v_mov_b32_e32 v116, v50
.LBB0_15:
	s_or_b64 exec, exec, s[2:3]
	v_mul_u32_u24_e32 v55, 3, v38
	v_mul_i32_i24_e32 v60, 3, v42
	v_lshl_add_u64 v[90:91], v[60:61], 3, s[8:9]
	v_lshlrev_b32_e32 v55, 3, v55
	v_mul_i32_i24_e32 v60, 3, v58
	global_load_dwordx2 v[110:111], v[90:91], off offset:2704
	global_load_dwordx4 v[86:89], v[90:91], off offset:2688
	global_load_dwordx2 v[112:113], v55, s[8:9] offset:2704
	s_nop 0
	global_load_dwordx4 v[90:93], v55, s[8:9] offset:2688
	v_lshl_add_u64 v[98:99], v[60:61], 3, s[8:9]
	global_load_dwordx4 v[94:97], v[98:99], off offset:2688
	global_load_dwordx2 v[114:115], v[98:99], off offset:2704
	v_mul_i32_i24_e32 v60, 3, v56
	v_lshl_add_u64 v[102:103], v[60:61], 3, s[8:9]
	global_load_dwordx2 v[118:119], v[102:103], off offset:2704
	global_load_dwordx4 v[98:101], v[102:103], off offset:2688
	v_mul_i32_i24_e32 v60, 3, v54
	v_lshl_add_u64 v[106:107], v[60:61], 3, s[8:9]
	global_load_dwordx2 v[120:121], v[106:107], off offset:2704
	global_load_dwordx4 v[102:105], v[106:107], off offset:2688
	v_mul_i32_i24_e32 v60, 3, v52
	v_lshl_add_u64 v[60:61], v[60:61], 3, s[8:9]
	global_load_dwordx2 v[122:123], v[60:61], off offset:2704
	global_load_dwordx4 v[106:109], v[60:61], off offset:2688
	s_waitcnt lgkmcnt(0)
	; wave barrier
	s_waitcnt vmcnt(11) lgkmcnt(0)
	v_pk_mul_f32 v[126:127], v[110:111], v[26:27] op_sel:[0,1]
	s_waitcnt vmcnt(10)
	v_pk_mul_f32 v[60:61], v[86:87], v[30:31] op_sel:[0,1]
	v_pk_mul_f32 v[124:125], v[88:89], v[34:35] op_sel:[0,1]
	s_waitcnt vmcnt(8)
	v_pk_mul_f32 v[128:129], v[90:91], v[28:29] op_sel:[0,1]
	v_pk_mul_f32 v[130:131], v[92:93], v[32:33] op_sel:[0,1]
	;; [unrolled: 1-line block ×3, first 2 shown]
	s_waitcnt vmcnt(7)
	v_pk_mul_f32 v[134:135], v[94:95], v[20:21] op_sel:[0,1]
	v_mov_b32_e32 v136, v97
	s_waitcnt vmcnt(6)
	v_pk_mul_f32 v[138:139], v[12:13], v[114:115] op_sel:[0,1]
	v_pk_fma_f32 v[140:141], v[86:87], v[30:31], v[60:61] op_sel:[0,0,1] op_sel_hi:[1,1,0] neg_lo:[0,0,1] neg_hi:[0,0,1]
	v_pk_fma_f32 v[30:31], v[86:87], v[30:31], v[60:61] op_sel:[0,0,1] op_sel_hi:[1,0,0]
	v_pk_fma_f32 v[60:61], v[88:89], v[34:35], v[124:125] op_sel:[0,0,1] op_sel_hi:[1,1,0] neg_lo:[0,0,1] neg_hi:[0,0,1]
	v_pk_fma_f32 v[34:35], v[88:89], v[34:35], v[124:125] op_sel:[0,0,1] op_sel_hi:[1,0,0]
	;; [unrolled: 2-line block ×7, first 2 shown]
	v_pk_mul_f32 v[94:95], v[16:17], v[136:137] op_sel_hi:[1,0]
	v_pk_fma_f32 v[112:113], v[12:13], v[114:115], v[138:139] op_sel:[0,0,1] op_sel_hi:[1,1,0] neg_lo:[0,0,1] neg_hi:[0,0,1]
	v_pk_fma_f32 v[12:13], v[12:13], v[114:115], v[138:139] op_sel:[0,0,1] op_sel_hi:[1,0,0]
	v_mov_b32_e32 v141, v31
	v_mov_b32_e32 v61, v35
	;; [unrolled: 1-line block ×7, first 2 shown]
	v_pk_fma_f32 v[20:21], v[16:17], v[96:97], v[94:95] op_sel:[0,0,1] op_sel_hi:[1,1,0] neg_lo:[0,0,1] neg_hi:[0,0,1]
	v_pk_fma_f32 v[16:17], v[16:17], v[96:97], v[94:95] op_sel:[0,0,1] op_sel_hi:[1,0,0]
	v_mov_b32_e32 v113, v13
	v_pk_add_f32 v[12:13], v[80:81], v[60:61] neg_lo:[0,1] neg_hi:[0,1]
	v_pk_add_f32 v[24:25], v[140:141], v[86:87] neg_lo:[0,1] neg_hi:[0,1]
	;; [unrolled: 1-line block ×4, first 2 shown]
	v_mov_b32_e32 v21, v17
	v_pk_add_f32 v[16:17], v[110:111], v[112:113] neg_lo:[0,1] neg_hi:[0,1]
	v_pk_fma_f32 v[30:31], v[80:81], 2.0, v[12:13] op_sel_hi:[1,0,1] neg_lo:[0,0,1] neg_hi:[0,0,1]
	v_pk_fma_f32 v[32:33], v[140:141], 2.0, v[24:25] op_sel_hi:[1,0,1] neg_lo:[0,0,1] neg_hi:[0,0,1]
	;; [unrolled: 1-line block ×4, first 2 shown]
	v_pk_add_f32 v[78:79], v[26:27], v[28:29] op_sel:[0,1] op_sel_hi:[1,0] neg_lo:[0,1] neg_hi:[0,1]
	v_pk_add_f32 v[28:29], v[26:27], v[28:29] op_sel:[0,1] op_sel_hi:[1,0]
	v_pk_add_f32 v[80:81], v[12:13], v[24:25] op_sel:[0,1] op_sel_hi:[1,0] neg_lo:[0,1] neg_hi:[0,1]
	v_pk_add_f32 v[20:21], v[76:77], v[20:21] neg_lo:[0,1] neg_hi:[0,1]
	v_pk_add_f32 v[24:25], v[12:13], v[24:25] op_sel:[0,1] op_sel_hi:[1,0]
	v_pk_fma_f32 v[86:87], v[110:111], 2.0, v[16:17] op_sel_hi:[1,0,1] neg_lo:[0,0,1] neg_hi:[0,0,1]
	v_pk_add_f32 v[60:61], v[34:35], v[60:61] neg_lo:[0,1] neg_hi:[0,1]
	v_mov_b32_e32 v79, v29
	v_pk_fma_f32 v[28:29], v[76:77], 2.0, v[20:21] op_sel_hi:[1,0,1] neg_lo:[0,0,1] neg_hi:[0,0,1]
	v_mov_b32_e32 v81, v25
	v_pk_add_f32 v[24:25], v[20:21], v[16:17] op_sel:[0,1] op_sel_hi:[1,0] neg_lo:[0,1] neg_hi:[0,1]
	v_pk_add_f32 v[16:17], v[20:21], v[16:17] op_sel:[0,1] op_sel_hi:[1,0]
	v_pk_add_f32 v[32:33], v[30:31], v[32:33] neg_lo:[0,1] neg_hi:[0,1]
	v_pk_fma_f32 v[34:35], v[34:35], 2.0, v[60:61] op_sel_hi:[1,0,1] neg_lo:[0,0,1] neg_hi:[0,0,1]
	v_pk_fma_f32 v[26:27], v[26:27], 2.0, v[78:79] op_sel_hi:[1,0,1] neg_lo:[0,0,1] neg_hi:[0,0,1]
	ds_write_b64 v172, v[60:61] offset:5408
	ds_write_b64 v172, v[78:79] offset:8112
	v_pk_add_f32 v[60:61], v[28:29], v[86:87] neg_lo:[0,1] neg_hi:[0,1]
	v_pk_fma_f32 v[12:13], v[12:13], 2.0, v[80:81] op_sel_hi:[1,0,1] neg_lo:[0,0,1] neg_hi:[0,0,1]
	v_mov_b32_e32 v25, v17
	v_pk_fma_f32 v[30:31], v[30:31], 2.0, v[32:33] op_sel_hi:[1,0,1] neg_lo:[0,0,1] neg_hi:[0,0,1]
	ds_write_b64 v172, v[34:35]
	ds_write_b64 v172, v[26:27] offset:2704
	ds_write_b64 v49, v[30:31]
	v_pk_fma_f32 v[26:27], v[28:29], 2.0, v[60:61] op_sel_hi:[1,0,1] neg_lo:[0,0,1] neg_hi:[0,0,1]
	ds_write_b64 v49, v[12:13] offset:2704
	ds_write_b64 v49, v[32:33] offset:5408
	;; [unrolled: 1-line block ×3, first 2 shown]
	v_add_u32_e32 v12, v47, v53
	v_pk_fma_f32 v[16:17], v[20:21], 2.0, v[24:25] op_sel_hi:[1,0,1] neg_lo:[0,0,1] neg_hi:[0,0,1]
	ds_write_b64 v12, v[26:27]
	ds_write_b64 v12, v[16:17] offset:2704
	ds_write_b64 v12, v[60:61] offset:5408
	;; [unrolled: 1-line block ×3, first 2 shown]
	s_waitcnt vmcnt(4)
	v_pk_mul_f32 v[16:17], v[22:23], v[98:99] op_sel:[0,1]
	v_add_u32_e32 v13, v43, v51
	v_pk_fma_f32 v[20:21], v[22:23], v[98:99], v[16:17] op_sel:[0,0,1] op_sel_hi:[1,1,0] neg_lo:[0,0,1] neg_hi:[0,0,1]
	v_pk_fma_f32 v[16:17], v[22:23], v[98:99], v[16:17] op_sel:[0,0,1] op_sel_hi:[1,0,0]
	s_nop 0
	v_mov_b32_e32 v16, v101
	v_mov_b32_e32 v21, v17
	v_pk_mul_f32 v[16:17], v[18:19], v[16:17] op_sel_hi:[1,0]
	s_nop 0
	v_pk_fma_f32 v[22:23], v[18:19], v[100:101], v[16:17] op_sel:[0,0,1] op_sel_hi:[1,1,0] neg_lo:[0,0,1] neg_hi:[0,0,1]
	v_pk_fma_f32 v[16:17], v[18:19], v[100:101], v[16:17] op_sel:[0,0,1] op_sel_hi:[1,0,0]
	s_nop 0
	v_mov_b32_e32 v23, v17
	v_pk_mul_f32 v[16:17], v[14:15], v[118:119] op_sel:[0,1]
	s_nop 0
	v_pk_fma_f32 v[18:19], v[14:15], v[118:119], v[16:17] op_sel:[0,0,1] op_sel_hi:[1,1,0] neg_lo:[0,0,1] neg_hi:[0,0,1]
	v_pk_fma_f32 v[14:15], v[14:15], v[118:119], v[16:17] op_sel:[0,0,1] op_sel_hi:[1,0,0]
	s_nop 0
	v_mov_b32_e32 v19, v15
	v_pk_add_f32 v[14:15], v[74:75], v[22:23] neg_lo:[0,1] neg_hi:[0,1]
	v_pk_add_f32 v[18:19], v[20:21], v[18:19] neg_lo:[0,1] neg_hi:[0,1]
	v_pk_fma_f32 v[16:17], v[74:75], 2.0, v[14:15] op_sel_hi:[1,0,1] neg_lo:[0,0,1] neg_hi:[0,0,1]
	v_pk_fma_f32 v[20:21], v[20:21], 2.0, v[18:19] op_sel_hi:[1,0,1] neg_lo:[0,0,1] neg_hi:[0,0,1]
	s_nop 0
	v_pk_add_f32 v[20:21], v[16:17], v[20:21] neg_lo:[0,1] neg_hi:[0,1]
	s_nop 0
	v_pk_fma_f32 v[16:17], v[16:17], 2.0, v[20:21] op_sel_hi:[1,0,1] neg_lo:[0,0,1] neg_hi:[0,0,1]
	ds_write_b64 v84, v[16:17]
	v_pk_add_f32 v[16:17], v[14:15], v[18:19] op_sel:[0,1] op_sel_hi:[1,0] neg_lo:[0,1] neg_hi:[0,1]
	v_pk_add_f32 v[18:19], v[14:15], v[18:19] op_sel:[0,1] op_sel_hi:[1,0]
	s_nop 0
	v_mov_b32_e32 v17, v19
	v_pk_fma_f32 v[14:15], v[14:15], 2.0, v[16:17] op_sel_hi:[1,0,1] neg_lo:[0,0,1] neg_hi:[0,0,1]
	ds_write_b64 v84, v[14:15] offset:2704
	ds_write_b64 v84, v[20:21] offset:5408
	;; [unrolled: 1-line block ×3, first 2 shown]
	s_waitcnt vmcnt(2)
	v_pk_mul_f32 v[14:15], v[8:9], v[102:103] op_sel:[0,1]
	s_nop 0
	v_pk_fma_f32 v[16:17], v[8:9], v[102:103], v[14:15] op_sel:[0,0,1] op_sel_hi:[1,1,0] neg_lo:[0,0,1] neg_hi:[0,0,1]
	v_pk_fma_f32 v[8:9], v[8:9], v[102:103], v[14:15] op_sel:[0,0,1] op_sel_hi:[1,0,0]
	s_nop 0
	v_mov_b32_e32 v8, v105
	v_mov_b32_e32 v17, v9
	v_pk_mul_f32 v[8:9], v[4:5], v[8:9] op_sel_hi:[1,0]
	s_nop 0
	v_pk_fma_f32 v[14:15], v[4:5], v[104:105], v[8:9] op_sel:[0,0,1] op_sel_hi:[1,1,0] neg_lo:[0,0,1] neg_hi:[0,0,1]
	v_pk_fma_f32 v[4:5], v[4:5], v[104:105], v[8:9] op_sel:[0,0,1] op_sel_hi:[1,0,0]
	s_nop 0
	v_mov_b32_e32 v15, v5
	v_pk_mul_f32 v[4:5], v[0:1], v[120:121] op_sel:[0,1]
	s_nop 0
	v_pk_fma_f32 v[8:9], v[0:1], v[120:121], v[4:5] op_sel:[0,0,1] op_sel_hi:[1,1,0] neg_lo:[0,0,1] neg_hi:[0,0,1]
	v_pk_fma_f32 v[0:1], v[0:1], v[120:121], v[4:5] op_sel:[0,0,1] op_sel_hi:[1,0,0]
	s_nop 0
	v_mov_b32_e32 v9, v1
	v_pk_add_f32 v[0:1], v[72:73], v[14:15] neg_lo:[0,1] neg_hi:[0,1]
	v_pk_add_f32 v[8:9], v[16:17], v[8:9] neg_lo:[0,1] neg_hi:[0,1]
	v_pk_fma_f32 v[4:5], v[72:73], 2.0, v[0:1] op_sel_hi:[1,0,1] neg_lo:[0,0,1] neg_hi:[0,0,1]
	v_pk_fma_f32 v[14:15], v[16:17], 2.0, v[8:9] op_sel_hi:[1,0,1] neg_lo:[0,0,1] neg_hi:[0,0,1]
	s_nop 0
	v_pk_add_f32 v[14:15], v[4:5], v[14:15] neg_lo:[0,1] neg_hi:[0,1]
	s_nop 0
	v_pk_fma_f32 v[4:5], v[4:5], 2.0, v[14:15] op_sel_hi:[1,0,1] neg_lo:[0,0,1] neg_hi:[0,0,1]
	ds_write_b64 v13, v[4:5]
	v_pk_add_f32 v[4:5], v[0:1], v[8:9] op_sel:[0,1] op_sel_hi:[1,0] neg_lo:[0,1] neg_hi:[0,1]
	v_pk_add_f32 v[8:9], v[0:1], v[8:9] op_sel:[0,1] op_sel_hi:[1,0]
	s_nop 0
	v_mov_b32_e32 v5, v9
	v_pk_fma_f32 v[0:1], v[0:1], 2.0, v[4:5] op_sel_hi:[1,0,1] neg_lo:[0,0,1] neg_hi:[0,0,1]
	ds_write_b64 v13, v[0:1] offset:2704
	ds_write_b64 v13, v[14:15] offset:5408
	;; [unrolled: 1-line block ×3, first 2 shown]
	s_waitcnt vmcnt(0)
	v_pk_mul_f32 v[0:1], v[10:11], v[106:107] op_sel:[0,1]
	s_nop 0
	v_pk_fma_f32 v[4:5], v[10:11], v[106:107], v[0:1] op_sel:[0,0,1] op_sel_hi:[1,1,0] neg_lo:[0,0,1] neg_hi:[0,0,1]
	v_pk_fma_f32 v[0:1], v[10:11], v[106:107], v[0:1] op_sel:[0,0,1] op_sel_hi:[1,0,0]
	s_nop 0
	v_mov_b32_e32 v0, v109
	v_mov_b32_e32 v5, v1
	v_pk_mul_f32 v[0:1], v[6:7], v[0:1] op_sel_hi:[1,0]
	s_nop 0
	v_pk_fma_f32 v[8:9], v[6:7], v[108:109], v[0:1] op_sel:[0,0,1] op_sel_hi:[1,1,0] neg_lo:[0,0,1] neg_hi:[0,0,1]
	v_pk_fma_f32 v[0:1], v[6:7], v[108:109], v[0:1] op_sel:[0,0,1] op_sel_hi:[1,0,0]
	s_nop 0
	v_mov_b32_e32 v9, v1
	v_pk_mul_f32 v[0:1], v[2:3], v[122:123] op_sel:[0,1]
	s_nop 0
	v_pk_fma_f32 v[6:7], v[2:3], v[122:123], v[0:1] op_sel:[0,0,1] op_sel_hi:[1,1,0] neg_lo:[0,0,1] neg_hi:[0,0,1]
	v_pk_fma_f32 v[0:1], v[2:3], v[122:123], v[0:1] op_sel:[0,0,1] op_sel_hi:[1,0,0]
	s_nop 0
	v_mov_b32_e32 v7, v1
	v_pk_add_f32 v[0:1], v[70:71], v[8:9] neg_lo:[0,1] neg_hi:[0,1]
	v_pk_add_f32 v[6:7], v[4:5], v[6:7] neg_lo:[0,1] neg_hi:[0,1]
	v_pk_fma_f32 v[2:3], v[70:71], 2.0, v[0:1] op_sel_hi:[1,0,1] neg_lo:[0,0,1] neg_hi:[0,0,1]
	v_pk_fma_f32 v[4:5], v[4:5], 2.0, v[6:7] op_sel_hi:[1,0,1] neg_lo:[0,0,1] neg_hi:[0,0,1]
	s_nop 0
	v_pk_add_f32 v[4:5], v[2:3], v[4:5] neg_lo:[0,1] neg_hi:[0,1]
	s_nop 0
	v_pk_fma_f32 v[2:3], v[2:3], 2.0, v[4:5] op_sel_hi:[1,0,1] neg_lo:[0,0,1] neg_hi:[0,0,1]
	ds_write_b64 v82, v[2:3]
	v_pk_add_f32 v[2:3], v[0:1], v[6:7] op_sel:[0,1] op_sel_hi:[1,0] neg_lo:[0,1] neg_hi:[0,1]
	v_pk_add_f32 v[6:7], v[0:1], v[6:7] op_sel:[0,1] op_sel_hi:[1,0]
	s_nop 0
	v_mov_b32_e32 v3, v7
	v_pk_fma_f32 v[0:1], v[0:1], 2.0, v[2:3] op_sel_hi:[1,0,1] neg_lo:[0,0,1] neg_hi:[0,0,1]
	ds_write_b64 v82, v[0:1] offset:2704
	ds_write_b64 v82, v[4:5] offset:5408
	;; [unrolled: 1-line block ×3, first 2 shown]
	s_and_saveexec_b64 s[2:3], vcc
	s_cbranch_execz .LBB0_17
; %bb.16:
	v_mul_i32_i24_e32 v0, 3, v116
	v_mov_b32_e32 v1, 0
	v_lshl_add_u64 v[4:5], v[0:1], 3, s[8:9]
	global_load_dwordx4 v[0:3], v[4:5], off offset:2688
	global_load_dwordx2 v[6:7], v[4:5], off offset:2704
	v_mov_b32_e32 v4, v69
	v_mov_b32_e32 v8, v65
	;; [unrolled: 1-line block ×3, first 2 shown]
	s_waitcnt vmcnt(1)
	v_pk_mul_f32 v[4:5], v[4:5], v[2:3] op_sel_hi:[0,1]
	v_pk_mul_f32 v[8:9], v[8:9], v[0:1] op_sel_hi:[0,1]
	s_waitcnt vmcnt(0)
	v_pk_mul_f32 v[10:11], v[10:11], v[6:7] op_sel_hi:[0,1]
	v_pk_fma_f32 v[14:15], v[68:69], v[2:3], v[4:5] op_sel:[0,0,1] op_sel_hi:[1,1,0] neg_lo:[0,0,1] neg_hi:[0,0,1]
	v_pk_fma_f32 v[2:3], v[68:69], v[2:3], v[4:5] op_sel:[0,0,1] op_sel_hi:[0,1,0]
	v_pk_fma_f32 v[4:5], v[64:65], v[0:1], v[8:9] op_sel:[0,0,1] op_sel_hi:[1,1,0] neg_lo:[0,0,1] neg_hi:[0,0,1]
	v_pk_fma_f32 v[0:1], v[64:65], v[0:1], v[8:9] op_sel:[0,0,1] op_sel_hi:[0,1,0]
	v_pk_fma_f32 v[8:9], v[66:67], v[6:7], v[10:11] op_sel:[0,0,1] op_sel_hi:[1,1,0] neg_lo:[0,0,1] neg_hi:[0,0,1]
	v_pk_fma_f32 v[6:7], v[66:67], v[6:7], v[10:11] op_sel:[0,0,1] op_sel_hi:[0,1,0]
	v_mov_b32_e32 v15, v3
	v_mov_b32_e32 v5, v1
	;; [unrolled: 1-line block ×3, first 2 shown]
	v_pk_add_f32 v[0:1], v[62:63], v[14:15] neg_lo:[0,1] neg_hi:[0,1]
	v_pk_add_f32 v[2:3], v[4:5], v[8:9] neg_lo:[0,1] neg_hi:[0,1]
	v_pk_fma_f32 v[6:7], v[62:63], 2.0, v[0:1] op_sel_hi:[1,0,1] neg_lo:[0,0,1] neg_hi:[0,0,1]
	v_pk_fma_f32 v[4:5], v[4:5], 2.0, v[2:3] op_sel_hi:[1,0,1] neg_lo:[0,0,1] neg_hi:[0,0,1]
	v_pk_add_f32 v[8:9], v[0:1], v[2:3] op_sel:[0,1] op_sel_hi:[1,0] neg_lo:[0,1] neg_hi:[0,1]
	v_pk_add_f32 v[2:3], v[0:1], v[2:3] op_sel:[0,1] op_sel_hi:[1,0]
	v_pk_add_f32 v[4:5], v[6:7], v[4:5] neg_lo:[0,1] neg_hi:[0,1]
	v_mov_b32_e32 v9, v3
	v_pk_fma_f32 v[2:3], v[6:7], 2.0, v[4:5] op_sel_hi:[1,0,1] neg_lo:[0,0,1] neg_hi:[0,0,1]
	v_pk_fma_f32 v[0:1], v[0:1], 2.0, v[8:9] op_sel_hi:[1,0,1] neg_lo:[0,0,1] neg_hi:[0,0,1]
	ds_write_b64 v172, v[4:5] offset:7904
	ds_write_b64 v172, v[2:3] offset:2496
	;; [unrolled: 1-line block ×4, first 2 shown]
.LBB0_17:
	s_or_b64 exec, exec, s[2:3]
	s_waitcnt lgkmcnt(0)
	; wave barrier
	s_waitcnt lgkmcnt(0)
	ds_read_b64 v[6:7], v172
	s_add_u32 s2, s8, 0x2a30
	s_addc_u32 s3, s9, 0
	v_sub_u32_e32 v8, 0, v39
	v_cmp_ne_u32_e32 vcc, 0, v38
                                        ; implicit-def: $vgpr0_vgpr1
                                        ; implicit-def: $vgpr5
                                        ; implicit-def: $vgpr2_vgpr3
	s_and_saveexec_b64 s[8:9], vcc
	s_xor_b64 s[8:9], exec, s[8:9]
	s_cbranch_execz .LBB0_19
; %bb.18:
	v_mov_b32_e32 v39, 0
	v_lshl_add_u64 v[0:1], v[38:39], 3, s[2:3]
	global_load_dwordx2 v[0:1], v[0:1], off
	ds_read_b64 v[2:3], v8 offset:10816
	v_mov_b32_e32 v5, 0.5
	v_mov_b32_e32 v10, v5
	s_waitcnt lgkmcnt(0)
	v_pk_add_f32 v[14:15], v[2:3], v[6:7]
	v_pk_add_f32 v[2:3], v[6:7], v[2:3] neg_lo:[0,1] neg_hi:[0,1]
	v_mov_b32_e32 v6, v15
	v_mov_b32_e32 v7, v2
	v_pk_mul_f32 v[6:7], v[6:7], 0.5 op_sel_hi:[1,0]
	s_waitcnt vmcnt(0)
	v_mov_b32_e32 v4, v1
	v_mov_b32_e32 v2, v7
	;; [unrolled: 1-line block ×4, first 2 shown]
	v_pk_mul_f32 v[2:3], v[4:5], v[2:3]
	v_pk_mul_f32 v[16:17], v[0:1], v[6:7] op_sel_hi:[0,1]
	v_pk_fma_f32 v[4:5], v[14:15], v[10:11], v[2:3]
	v_pk_fma_f32 v[2:3], v[14:15], v[10:11], v[2:3] neg_lo:[0,0,1] neg_hi:[0,0,1]
	v_add_f32_e32 v4, v16, v4
	v_sub_f32_e32 v5, v5, v17
	v_pk_fma_f32 v[0:1], v[0:1], v[6:7], v[2:3] op_sel_hi:[0,1,1] neg_lo:[1,0,0] neg_hi:[1,0,0]
	ds_write_b32 v172, v4
	v_mov_b64_e32 v[2:3], v[38:39]
                                        ; implicit-def: $vgpr6_vgpr7
.LBB0_19:
	s_or_saveexec_b64 s[8:9], s[8:9]
	v_sub_u32_e32 v11, 0, v176
	v_sub_u32_e32 v10, 0, v175
	;; [unrolled: 1-line block ×3, first 2 shown]
	s_xor_b64 exec, exec, s[8:9]
	s_cbranch_execz .LBB0_21
; %bb.20:
	s_waitcnt lgkmcnt(0)
	v_mov_b32_e32 v0, v7
	v_pk_add_f32 v[4:5], v[6:7], v[0:1] neg_lo:[0,1] neg_hi:[0,1]
	v_add_f32_e32 v1, v7, v6
	v_mov_b32_e32 v5, 0
	ds_read_b32 v0, v5 offset:5412
	v_mov_b64_e32 v[2:3], 0
	ds_write_b32 v172, v1
	s_waitcnt lgkmcnt(1)
	v_xor_b32_e32 v0, 0x80000000, v0
	ds_write_b32 v5, v0 offset:5412
	v_mov_b64_e32 v[0:1], v[4:5]
.LBB0_21:
	s_or_b64 exec, exec, s[8:9]
	v_mov_b32_e32 v43, 0
	s_waitcnt lgkmcnt(0)
	v_lshl_add_u64 v[6:7], v[42:43], 3, s[2:3]
	global_load_dwordx2 v[6:7], v[6:7], off
	v_mov_b32_e32 v59, v43
	v_lshl_add_u64 v[14:15], v[58:59], 3, s[2:3]
	global_load_dwordx2 v[14:15], v[14:15], off
	v_mov_b32_e32 v57, v43
	;; [unrolled: 3-line block ×3, first 2 shown]
	ds_write_b32 v172, v5 offset:4
	v_lshl_add_u64 v[4:5], v[54:55], 3, s[2:3]
	global_load_dwordx2 v[4:5], v[4:5], off
	ds_write_b64 v8, v[0:1] offset:10816
	ds_read_b64 v[18:19], v49
	ds_read_b64 v[20:21], v8 offset:10400
	v_mov_b32_e32 v1, 0.5
	v_mov_b32_e32 v22, v1
	v_mov_b32_e32 v53, v43
	v_lshl_add_u64 v[30:31], v[52:53], 3, s[2:3]
	s_waitcnt lgkmcnt(0)
	v_pk_add_f32 v[32:33], v[18:19], v[20:21]
	v_pk_add_f32 v[18:19], v[18:19], v[20:21] neg_lo:[0,1] neg_hi:[0,1]
	v_mov_b32_e32 v20, v33
	v_mov_b32_e32 v21, v18
	v_pk_mul_f32 v[20:21], v[20:21], 0.5 op_sel_hi:[1,0]
	global_load_dwordx2 v[30:31], v[30:31], off
	v_mov_b32_e32 v18, v21
	v_mov_b32_e32 v33, v20
	;; [unrolled: 1-line block ×5, first 2 shown]
	v_lshl_add_u64 v[2:3], v[2:3], 3, s[2:3]
	v_mov_b32_e32 v28, v1
	v_mov_b32_e32 v47, v43
	s_movk_i32 s8, 0x1000
	v_add_u32_e32 v11, v45, v11
	v_mov_b32_e32 v45, v43
	v_add_u32_e32 v9, v173, v9
	s_waitcnt vmcnt(4)
	v_mov_b32_e32 v0, v7
	v_mov_b32_e32 v23, v7
	v_pk_mul_f32 v[18:19], v[0:1], v[18:19]
	s_waitcnt vmcnt(3)
	v_mov_b32_e32 v0, v15
	v_pk_fma_f32 v[34:35], v[32:33], v[22:23], v[18:19]
	v_pk_fma_f32 v[18:19], v[32:33], v[22:23], v[18:19] neg_lo:[0,0,1] neg_hi:[0,0,1]
	v_pk_fma_f32 v[22:23], v[6:7], v[20:21], v[34:35]
	v_pk_fma_f32 v[32:33], v[6:7], v[20:21], v[34:35] op_sel_hi:[0,1,1] neg_lo:[1,0,0] neg_hi:[1,0,0]
	v_mov_b32_e32 v23, v33
	v_pk_fma_f32 v[6:7], v[6:7], v[20:21], v[18:19] op_sel_hi:[0,1,1] neg_lo:[1,0,0] neg_hi:[1,0,0]
	ds_write_b64 v49, v[22:23]
	ds_write_b64 v8, v[6:7] offset:10400
	ds_read_b64 v[6:7], v12
	ds_read_b64 v[18:19], v8 offset:9984
	v_mov_b32_e32 v25, v15
	v_lshl_add_u64 v[20:21], v[50:51], 3, s[2:3]
	global_load_dwordx2 v[20:21], v[20:21], off
	s_waitcnt vmcnt(3)
	v_mov_b32_e32 v27, v17
	s_waitcnt lgkmcnt(0)
	v_pk_add_f32 v[22:23], v[6:7], v[18:19]
	v_pk_add_f32 v[6:7], v[6:7], v[18:19] neg_lo:[0,1] neg_hi:[0,1]
	v_mov_b32_e32 v18, v23
	v_mov_b32_e32 v19, v6
	v_pk_mul_f32 v[18:19], v[18:19], 0.5 op_sel_hi:[1,0]
	s_waitcnt vmcnt(2)
	v_mov_b32_e32 v29, v5
	v_mov_b32_e32 v6, v19
	v_mov_b32_e32 v23, v18
	v_pk_mul_f32 v[6:7], v[0:1], v[6:7]
	v_mov_b32_e32 v0, v17
	v_pk_fma_f32 v[32:33], v[22:23], v[24:25], v[6:7]
	v_pk_fma_f32 v[6:7], v[22:23], v[24:25], v[6:7] neg_lo:[0,0,1] neg_hi:[0,0,1]
	v_pk_fma_f32 v[22:23], v[14:15], v[18:19], v[32:33]
	v_pk_fma_f32 v[24:25], v[14:15], v[18:19], v[32:33] op_sel_hi:[0,1,1] neg_lo:[1,0,0] neg_hi:[1,0,0]
	v_mov_b32_e32 v23, v25
	v_pk_fma_f32 v[6:7], v[14:15], v[18:19], v[6:7] op_sel_hi:[0,1,1] neg_lo:[1,0,0] neg_hi:[1,0,0]
	ds_write_b64 v12, v[22:23]
	ds_write_b64 v8, v[6:7] offset:9984
	ds_read_b64 v[6:7], v84
	ds_read_b64 v[14:15], v8 offset:9568
	global_load_dwordx2 v[18:19], v[2:3], off offset:2912
	v_mov_b32_e32 v49, v43
	v_mov_b32_e32 v12, v1
	s_waitcnt lgkmcnt(0)
	v_pk_add_f32 v[22:23], v[6:7], v[14:15]
	v_pk_add_f32 v[6:7], v[6:7], v[14:15] neg_lo:[0,1] neg_hi:[0,1]
	v_mov_b32_e32 v14, v23
	v_mov_b32_e32 v15, v6
	v_pk_mul_f32 v[14:15], v[14:15], 0.5 op_sel_hi:[1,0]
	s_nop 0
	v_mov_b32_e32 v6, v15
	v_mov_b32_e32 v23, v14
	v_pk_mul_f32 v[6:7], v[0:1], v[6:7]
	v_mov_b32_e32 v0, v5
	v_pk_fma_f32 v[24:25], v[22:23], v[26:27], v[6:7]
	v_pk_fma_f32 v[6:7], v[22:23], v[26:27], v[6:7] neg_lo:[0,0,1] neg_hi:[0,0,1]
	v_pk_fma_f32 v[22:23], v[16:17], v[14:15], v[24:25]
	v_pk_fma_f32 v[24:25], v[16:17], v[14:15], v[24:25] op_sel_hi:[0,1,1] neg_lo:[1,0,0] neg_hi:[1,0,0]
	v_mov_b32_e32 v23, v25
	v_pk_fma_f32 v[6:7], v[16:17], v[14:15], v[6:7] op_sel_hi:[0,1,1] neg_lo:[1,0,0] neg_hi:[1,0,0]
	ds_write_b64 v84, v[22:23]
	ds_write_b64 v8, v[6:7] offset:9568
	ds_read_b64 v[6:7], v13
	ds_read_b64 v[14:15], v8 offset:9152
	v_lshl_add_u64 v[16:17], v[48:49], 3, s[2:3]
	s_waitcnt lgkmcnt(0)
	v_pk_add_f32 v[22:23], v[6:7], v[14:15]
	v_pk_add_f32 v[6:7], v[6:7], v[14:15] neg_lo:[0,1] neg_hi:[0,1]
	v_mov_b32_e32 v14, v23
	v_mov_b32_e32 v15, v6
	v_pk_mul_f32 v[14:15], v[14:15], 0.5 op_sel_hi:[1,0]
	s_nop 0
	v_mov_b32_e32 v6, v15
	v_mov_b32_e32 v23, v14
	v_pk_mul_f32 v[6:7], v[0:1], v[6:7]
	s_waitcnt vmcnt(2)
	v_mov_b32_e32 v0, v31
	v_pk_fma_f32 v[24:25], v[22:23], v[28:29], v[6:7]
	v_pk_fma_f32 v[6:7], v[22:23], v[28:29], v[6:7] neg_lo:[0,0,1] neg_hi:[0,0,1]
	v_pk_fma_f32 v[22:23], v[4:5], v[14:15], v[24:25]
	v_pk_fma_f32 v[24:25], v[4:5], v[14:15], v[24:25] op_sel_hi:[0,1,1] neg_lo:[1,0,0] neg_hi:[1,0,0]
	v_mov_b32_e32 v23, v25
	v_pk_fma_f32 v[4:5], v[4:5], v[14:15], v[6:7] op_sel_hi:[0,1,1] neg_lo:[1,0,0] neg_hi:[1,0,0]
	ds_write_b64 v13, v[22:23]
	ds_write_b64 v8, v[4:5] offset:9152
	ds_read_b64 v[4:5], v82
	ds_read_b64 v[6:7], v8 offset:8736
	global_load_dwordx2 v[14:15], v[16:17], off
	global_load_dwordx2 v[22:23], v[2:3], off offset:3744
	v_mov_b32_e32 v13, v31
	v_add_co_u32_e32 v2, vcc, s8, v2
	s_waitcnt lgkmcnt(0)
	v_pk_add_f32 v[16:17], v[4:5], v[6:7]
	v_pk_add_f32 v[4:5], v[4:5], v[6:7] neg_lo:[0,1] neg_hi:[0,1]
	v_mov_b32_e32 v6, v17
	v_mov_b32_e32 v7, v4
	v_pk_mul_f32 v[6:7], v[6:7], 0.5 op_sel_hi:[1,0]
	v_addc_co_u32_e32 v3, vcc, 0, v3, vcc
	v_mov_b32_e32 v4, v7
	v_mov_b32_e32 v17, v6
	v_pk_mul_f32 v[4:5], v[0:1], v[4:5]
	s_waitcnt vmcnt(3)
	v_mov_b32_e32 v0, v21
	v_pk_fma_f32 v[24:25], v[16:17], v[12:13], v[4:5]
	v_pk_fma_f32 v[4:5], v[16:17], v[12:13], v[4:5] neg_lo:[0,0,1] neg_hi:[0,0,1]
	v_pk_fma_f32 v[12:13], v[30:31], v[6:7], v[24:25]
	v_pk_fma_f32 v[16:17], v[30:31], v[6:7], v[24:25] op_sel_hi:[0,1,1] neg_lo:[1,0,0] neg_hi:[1,0,0]
	v_mov_b32_e32 v13, v17
	v_pk_fma_f32 v[4:5], v[30:31], v[6:7], v[4:5] op_sel_hi:[0,1,1] neg_lo:[1,0,0] neg_hi:[1,0,0]
	ds_write_b64 v82, v[12:13]
	ds_write_b64 v8, v[4:5] offset:8736
	ds_read_b64 v[4:5], v83
	ds_read_b64 v[6:7], v8 offset:8320
	v_mov_b32_e32 v12, v1
	v_mov_b32_e32 v13, v21
	;; [unrolled: 1-line block ×3, first 2 shown]
	s_waitcnt lgkmcnt(0)
	v_pk_add_f32 v[24:25], v[4:5], v[6:7]
	v_pk_add_f32 v[4:5], v[4:5], v[6:7] neg_lo:[0,1] neg_hi:[0,1]
	v_mov_b32_e32 v6, v25
	v_mov_b32_e32 v7, v4
	v_pk_mul_f32 v[6:7], v[6:7], 0.5 op_sel_hi:[1,0]
	s_waitcnt vmcnt(2)
	v_mov_b32_e32 v17, v19
	v_mov_b32_e32 v4, v7
	;; [unrolled: 1-line block ×3, first 2 shown]
	v_pk_mul_f32 v[4:5], v[0:1], v[4:5]
	v_mov_b32_e32 v0, v19
	v_pk_fma_f32 v[26:27], v[24:25], v[12:13], v[4:5]
	v_pk_fma_f32 v[4:5], v[24:25], v[12:13], v[4:5] neg_lo:[0,0,1] neg_hi:[0,0,1]
	v_pk_fma_f32 v[12:13], v[20:21], v[6:7], v[26:27]
	v_pk_fma_f32 v[24:25], v[20:21], v[6:7], v[26:27] op_sel_hi:[0,1,1] neg_lo:[1,0,0] neg_hi:[1,0,0]
	v_mov_b32_e32 v13, v25
	v_pk_fma_f32 v[4:5], v[20:21], v[6:7], v[4:5] op_sel_hi:[0,1,1] neg_lo:[1,0,0] neg_hi:[1,0,0]
	ds_write_b64 v83, v[12:13]
	ds_write_b64 v8, v[4:5] offset:8320
	v_lshl_add_u64 v[12:13], v[46:47], 3, s[2:3]
	ds_read_b64 v[4:5], v172 offset:2912
	ds_read_b64 v[6:7], v8 offset:7904
	global_load_dwordx2 v[12:13], v[12:13], off
	s_waitcnt lgkmcnt(0)
	v_pk_add_f32 v[20:21], v[4:5], v[6:7]
	v_pk_add_f32 v[4:5], v[4:5], v[6:7] neg_lo:[0,1] neg_hi:[0,1]
	v_mov_b32_e32 v6, v21
	v_mov_b32_e32 v7, v4
	v_pk_mul_f32 v[6:7], v[6:7], 0.5 op_sel_hi:[1,0]
	s_nop 0
	v_mov_b32_e32 v4, v7
	v_mov_b32_e32 v21, v6
	v_pk_mul_f32 v[4:5], v[0:1], v[4:5]
	s_waitcnt vmcnt(2)
	v_mov_b32_e32 v0, v15
	v_pk_fma_f32 v[24:25], v[20:21], v[16:17], v[4:5]
	v_pk_fma_f32 v[4:5], v[20:21], v[16:17], v[4:5] neg_lo:[0,0,1] neg_hi:[0,0,1]
	v_pk_fma_f32 v[26:27], v[18:19], v[6:7], v[24:25]
	v_pk_fma_f32 v[24:25], v[18:19], v[6:7], v[24:25] op_sel_hi:[0,1,1] neg_lo:[1,0,0] neg_hi:[1,0,0]
	v_mov_b32_e32 v27, v25
	v_pk_fma_f32 v[4:5], v[18:19], v[6:7], v[4:5] op_sel_hi:[0,1,1] neg_lo:[1,0,0] neg_hi:[1,0,0]
	ds_write_b64 v172, v[26:27] offset:2912
	ds_write_b64 v8, v[4:5] offset:7904
	ds_read_b64 v[4:5], v11
	ds_read_b64 v[6:7], v8 offset:7488
	global_load_dwordx2 v[2:3], v[2:3], off offset:480
	v_mov_b32_e32 v18, v1
	v_mov_b32_e32 v19, v15
	s_waitcnt lgkmcnt(0)
	v_pk_add_f32 v[16:17], v[4:5], v[6:7]
	v_pk_add_f32 v[4:5], v[4:5], v[6:7] neg_lo:[0,1] neg_hi:[0,1]
	v_mov_b32_e32 v6, v17
	v_mov_b32_e32 v7, v4
	v_pk_mul_f32 v[6:7], v[6:7], 0.5 op_sel_hi:[1,0]
	s_nop 0
	v_mov_b32_e32 v4, v7
	v_pk_mul_f32 v[4:5], v[0:1], v[4:5]
	v_mov_b32_e32 v17, v6
	v_pk_fma_f32 v[20:21], v[16:17], v[18:19], v[4:5]
	v_pk_fma_f32 v[4:5], v[16:17], v[18:19], v[4:5] neg_lo:[0,0,1] neg_hi:[0,0,1]
	v_pk_fma_f32 v[24:25], v[14:15], v[6:7], v[20:21]
	v_pk_fma_f32 v[20:21], v[14:15], v[6:7], v[20:21] op_sel_hi:[0,1,1] neg_lo:[1,0,0] neg_hi:[1,0,0]
	v_mov_b32_e32 v25, v21
	v_pk_fma_f32 v[4:5], v[14:15], v[6:7], v[4:5] op_sel_hi:[0,1,1] neg_lo:[1,0,0] neg_hi:[1,0,0]
	ds_write_b64 v11, v[24:25]
	ds_write_b64 v8, v[4:5] offset:7488
	v_lshl_add_u64 v[16:17], v[44:45], 3, s[2:3]
	ds_read_b64 v[4:5], v172 offset:3744
	ds_read_b64 v[6:7], v8 offset:7072
	global_load_dwordx2 v[16:17], v[16:17], off
	s_waitcnt vmcnt(3)
	v_mov_b32_e32 v0, v23
	v_mov_b32_e32 v19, v23
	s_waitcnt lgkmcnt(0)
	v_pk_add_f32 v[14:15], v[4:5], v[6:7]
	v_pk_add_f32 v[4:5], v[4:5], v[6:7] neg_lo:[0,1] neg_hi:[0,1]
	v_mov_b32_e32 v6, v15
	v_mov_b32_e32 v7, v4
	v_pk_mul_f32 v[6:7], v[6:7], 0.5 op_sel_hi:[1,0]
	s_nop 0
	v_mov_b32_e32 v4, v7
	v_pk_mul_f32 v[4:5], v[0:1], v[4:5]
	v_mov_b32_e32 v15, v6
	v_pk_fma_f32 v[20:21], v[14:15], v[18:19], v[4:5]
	v_pk_fma_f32 v[4:5], v[14:15], v[18:19], v[4:5] neg_lo:[0,0,1] neg_hi:[0,0,1]
	v_pk_fma_f32 v[24:25], v[22:23], v[6:7], v[20:21]
	v_pk_fma_f32 v[20:21], v[22:23], v[6:7], v[20:21] op_sel_hi:[0,1,1] neg_lo:[1,0,0] neg_hi:[1,0,0]
	v_mov_b32_e32 v25, v21
	v_pk_fma_f32 v[4:5], v[22:23], v[6:7], v[4:5] op_sel_hi:[0,1,1] neg_lo:[1,0,0] neg_hi:[1,0,0]
	ds_write_b64 v172, v[24:25] offset:3744
	ds_write_b64 v8, v[4:5] offset:7072
	v_add_u32_e32 v22, v174, v10
	ds_read_b64 v[4:5], v22
	ds_read_b64 v[6:7], v8 offset:6656
	s_waitcnt vmcnt(2)
	v_mov_b32_e32 v0, v13
	v_mov_b32_e32 v14, v1
	;; [unrolled: 1-line block ×3, first 2 shown]
	s_waitcnt lgkmcnt(0)
	v_pk_add_f32 v[10:11], v[4:5], v[6:7]
	v_pk_add_f32 v[4:5], v[4:5], v[6:7] neg_lo:[0,1] neg_hi:[0,1]
	v_mov_b32_e32 v6, v11
	v_mov_b32_e32 v7, v4
	v_pk_mul_f32 v[6:7], v[6:7], 0.5 op_sel_hi:[1,0]
	s_nop 0
	v_mov_b32_e32 v4, v7
	v_pk_mul_f32 v[4:5], v[0:1], v[4:5]
	v_mov_b32_e32 v11, v6
	v_pk_fma_f32 v[18:19], v[10:11], v[14:15], v[4:5]
	v_pk_fma_f32 v[4:5], v[10:11], v[14:15], v[4:5] neg_lo:[0,0,1] neg_hi:[0,0,1]
	v_pk_fma_f32 v[20:21], v[12:13], v[6:7], v[18:19]
	v_pk_fma_f32 v[18:19], v[12:13], v[6:7], v[18:19] op_sel_hi:[0,1,1] neg_lo:[1,0,0] neg_hi:[1,0,0]
	v_mov_b32_e32 v21, v19
	v_pk_fma_f32 v[4:5], v[12:13], v[6:7], v[4:5] op_sel_hi:[0,1,1] neg_lo:[1,0,0] neg_hi:[1,0,0]
	ds_write_b64 v22, v[20:21]
	ds_write_b64 v8, v[4:5] offset:6656
	ds_read_b64 v[4:5], v172 offset:4576
	ds_read_b64 v[6:7], v8 offset:6240
	v_mov_b32_e32 v12, v1
	s_waitcnt lgkmcnt(0)
	v_pk_add_f32 v[10:11], v[4:5], v[6:7]
	v_pk_add_f32 v[4:5], v[4:5], v[6:7] neg_lo:[0,1] neg_hi:[0,1]
	v_mov_b32_e32 v6, v11
	v_mov_b32_e32 v7, v4
	v_pk_mul_f32 v[6:7], v[6:7], 0.5 op_sel_hi:[1,0]
	s_waitcnt vmcnt(1)
	v_mov_b32_e32 v0, v3
	v_mov_b32_e32 v4, v7
	v_pk_mul_f32 v[4:5], v[0:1], v[4:5]
	v_mov_b32_e32 v11, v6
	v_mov_b32_e32 v13, v3
	v_pk_fma_f32 v[14:15], v[10:11], v[12:13], v[4:5]
	v_pk_fma_f32 v[4:5], v[10:11], v[12:13], v[4:5] neg_lo:[0,0,1] neg_hi:[0,0,1]
	v_pk_fma_f32 v[18:19], v[2:3], v[6:7], v[14:15]
	v_pk_fma_f32 v[14:15], v[2:3], v[6:7], v[14:15] op_sel_hi:[0,1,1] neg_lo:[1,0,0] neg_hi:[1,0,0]
	v_mov_b32_e32 v19, v15
	v_pk_fma_f32 v[2:3], v[2:3], v[6:7], v[4:5] op_sel_hi:[0,1,1] neg_lo:[1,0,0] neg_hi:[1,0,0]
	ds_write_b64 v172, v[18:19] offset:4576
	ds_write_b64 v8, v[2:3] offset:6240
	ds_read_b64 v[2:3], v9
	ds_read_b64 v[4:5], v8 offset:5824
	s_waitcnt lgkmcnt(0)
	v_pk_add_f32 v[6:7], v[2:3], v[4:5]
	v_pk_add_f32 v[2:3], v[2:3], v[4:5] neg_lo:[0,1] neg_hi:[0,1]
	v_mov_b32_e32 v4, v7
	v_mov_b32_e32 v5, v2
	v_pk_mul_f32 v[4:5], v[4:5], 0.5 op_sel_hi:[1,0]
	s_waitcnt vmcnt(0)
	v_mov_b32_e32 v0, v17
	v_mov_b32_e32 v2, v5
	v_pk_mul_f32 v[2:3], v[0:1], v[2:3]
	v_mov_b32_e32 v7, v4
	v_mov_b32_e32 v0, v1
	;; [unrolled: 1-line block ×3, first 2 shown]
	v_pk_fma_f32 v[10:11], v[6:7], v[0:1], v[2:3]
	v_pk_fma_f32 v[0:1], v[6:7], v[0:1], v[2:3] neg_lo:[0,0,1] neg_hi:[0,0,1]
	v_pk_fma_f32 v[12:13], v[16:17], v[4:5], v[10:11]
	v_pk_fma_f32 v[10:11], v[16:17], v[4:5], v[10:11] op_sel_hi:[0,1,1] neg_lo:[1,0,0] neg_hi:[1,0,0]
	v_mov_b32_e32 v13, v11
	v_pk_fma_f32 v[0:1], v[16:17], v[4:5], v[0:1] op_sel_hi:[0,1,1] neg_lo:[1,0,0] neg_hi:[1,0,0]
	ds_write_b64 v9, v[12:13]
	ds_write_b64 v8, v[0:1] offset:5824
	s_waitcnt lgkmcnt(0)
	; wave barrier
	s_waitcnt lgkmcnt(0)
	s_and_saveexec_b64 s[2:3], s[0:1]
	s_cbranch_execz .LBB0_24
; %bb.22:
	v_mul_lo_u32 v2, s5, v40
	v_mul_lo_u32 v3, s4, v41
	v_mad_u64_u32 v[0:1], s[0:1], s4, v40, 0
	v_lshl_add_u32 v10, v38, 3, 0
	v_add3_u32 v1, v1, v3, v2
	ds_read2_b64 v[2:5], v10 offset1:52
	v_lshl_add_u64 v[0:1], v[0:1], 3, s[6:7]
	v_mov_b32_e32 v39, v43
	v_lshl_add_u64 v[0:1], v[36:37], 3, v[0:1]
	v_lshl_add_u64 v[6:7], v[38:39], 3, v[0:1]
	s_waitcnt lgkmcnt(0)
	global_store_dwordx2 v[6:7], v[2:3], off
	ds_read2_b64 v[6:9], v10 offset0:104 offset1:156
	v_add_u32_e32 v42, 52, v38
	v_lshl_add_u64 v[2:3], v[42:43], 3, v[0:1]
	v_add_u32_e32 v42, 0x68, v38
	global_store_dwordx2 v[2:3], v[4:5], off
	v_lshl_add_u64 v[2:3], v[42:43], 3, v[0:1]
	s_waitcnt lgkmcnt(0)
	global_store_dwordx2 v[2:3], v[6:7], off
	v_add_u32_e32 v2, 0x400, v10
	ds_read2_b64 v[2:5], v2 offset0:80 offset1:132
	v_add_u32_e32 v42, 0x9c, v38
	v_lshl_add_u64 v[6:7], v[42:43], 3, v[0:1]
	v_add_u32_e32 v42, 0xd0, v38
	global_store_dwordx2 v[6:7], v[8:9], off
	v_lshl_add_u64 v[6:7], v[42:43], 3, v[0:1]
	v_add_u32_e32 v11, 0x800, v10
	s_waitcnt lgkmcnt(0)
	global_store_dwordx2 v[6:7], v[2:3], off
	ds_read2_b64 v[6:9], v11 offset0:56 offset1:108
	v_add_u32_e32 v42, 0x104, v38
	v_lshl_add_u64 v[2:3], v[42:43], 3, v[0:1]
	v_add_u32_e32 v42, 0x138, v38
	global_store_dwordx2 v[2:3], v[4:5], off
	v_lshl_add_u64 v[2:3], v[42:43], 3, v[0:1]
	s_waitcnt lgkmcnt(0)
	global_store_dwordx2 v[2:3], v[6:7], off
	ds_read2_b64 v[2:5], v11 offset0:160 offset1:212
	v_add_u32_e32 v42, 0x16c, v38
	v_lshl_add_u64 v[6:7], v[42:43], 3, v[0:1]
	v_add_u32_e32 v42, 0x1a0, v38
	global_store_dwordx2 v[6:7], v[8:9], off
	v_lshl_add_u64 v[6:7], v[42:43], 3, v[0:1]
	v_add_u32_e32 v11, 0x1000, v10
	s_waitcnt lgkmcnt(0)
	global_store_dwordx2 v[6:7], v[2:3], off
	ds_read2_b64 v[6:9], v11 offset0:8 offset1:60
	v_add_u32_e32 v42, 0x1d4, v38
	v_lshl_add_u64 v[2:3], v[42:43], 3, v[0:1]
	v_add_u32_e32 v42, 0x208, v38
	global_store_dwordx2 v[2:3], v[4:5], off
	v_lshl_add_u64 v[2:3], v[42:43], 3, v[0:1]
	s_waitcnt lgkmcnt(0)
	global_store_dwordx2 v[2:3], v[6:7], off
	ds_read2_b64 v[2:5], v11 offset0:112 offset1:164
	v_add_u32_e32 v42, 0x23c, v38
	v_lshl_add_u64 v[6:7], v[42:43], 3, v[0:1]
	v_add_u32_e32 v42, 0x270, v38
	global_store_dwordx2 v[6:7], v[8:9], off
	v_lshl_add_u64 v[6:7], v[42:43], 3, v[0:1]
	s_waitcnt lgkmcnt(0)
	global_store_dwordx2 v[6:7], v[2:3], off
	v_add_u32_e32 v2, 0x1400, v10
	ds_read2_b64 v[6:9], v2 offset0:88 offset1:140
	v_add_u32_e32 v42, 0x2a4, v38
	v_lshl_add_u64 v[2:3], v[42:43], 3, v[0:1]
	v_add_u32_e32 v42, 0x2d8, v38
	global_store_dwordx2 v[2:3], v[4:5], off
	v_lshl_add_u64 v[2:3], v[42:43], 3, v[0:1]
	v_add_u32_e32 v11, 0x1800, v10
	s_waitcnt lgkmcnt(0)
	global_store_dwordx2 v[2:3], v[6:7], off
	ds_read2_b64 v[2:5], v11 offset0:64 offset1:116
	v_add_u32_e32 v42, 0x30c, v38
	v_lshl_add_u64 v[6:7], v[42:43], 3, v[0:1]
	v_add_u32_e32 v42, 0x340, v38
	global_store_dwordx2 v[6:7], v[8:9], off
	v_lshl_add_u64 v[6:7], v[42:43], 3, v[0:1]
	s_waitcnt lgkmcnt(0)
	global_store_dwordx2 v[6:7], v[2:3], off
	ds_read2_b64 v[6:9], v11 offset0:168 offset1:220
	v_add_u32_e32 v42, 0x374, v38
	v_lshl_add_u64 v[2:3], v[42:43], 3, v[0:1]
	v_add_u32_e32 v42, 0x3a8, v38
	global_store_dwordx2 v[2:3], v[4:5], off
	v_lshl_add_u64 v[2:3], v[42:43], 3, v[0:1]
	v_add_u32_e32 v11, 0x2000, v10
	s_waitcnt lgkmcnt(0)
	global_store_dwordx2 v[2:3], v[6:7], off
	ds_read2_b64 v[2:5], v11 offset0:16 offset1:68
	v_add_u32_e32 v42, 0x3dc, v38
	v_lshl_add_u64 v[6:7], v[42:43], 3, v[0:1]
	v_add_u32_e32 v42, 0x410, v38
	global_store_dwordx2 v[6:7], v[8:9], off
	v_lshl_add_u64 v[6:7], v[42:43], 3, v[0:1]
	s_waitcnt lgkmcnt(0)
	global_store_dwordx2 v[6:7], v[2:3], off
	ds_read2_b64 v[6:9], v11 offset0:120 offset1:172
	v_add_u32_e32 v42, 0x444, v38
	v_lshl_add_u64 v[2:3], v[42:43], 3, v[0:1]
	v_add_u32_e32 v42, 0x478, v38
	global_store_dwordx2 v[2:3], v[4:5], off
	v_lshl_add_u64 v[2:3], v[42:43], 3, v[0:1]
	s_waitcnt lgkmcnt(0)
	global_store_dwordx2 v[2:3], v[6:7], off
	v_add_u32_e32 v2, 0x2400, v10
	ds_read2_b64 v[2:5], v2 offset0:96 offset1:148
	v_add_u32_e32 v42, 0x4ac, v38
	v_lshl_add_u64 v[6:7], v[42:43], 3, v[0:1]
	v_add_u32_e32 v42, 0x4e0, v38
	global_store_dwordx2 v[6:7], v[8:9], off
	v_lshl_add_u64 v[6:7], v[42:43], 3, v[0:1]
	v_add_u32_e32 v42, 0x514, v38
	s_waitcnt lgkmcnt(0)
	global_store_dwordx2 v[6:7], v[2:3], off
	v_lshl_add_u64 v[2:3], v[42:43], 3, v[0:1]
	v_cmp_eq_u32_e32 vcc, 51, v38
	global_store_dwordx2 v[2:3], v[4:5], off
	s_and_b64 exec, exec, vcc
	s_cbranch_execz .LBB0_24
; %bb.23:
	v_mov_b32_e32 v2, 0
	ds_read_b64 v[2:3], v2 offset:10816
	v_add_co_u32_e32 v0, vcc, 0x2000, v0
	s_nop 1
	v_addc_co_u32_e32 v1, vcc, 0, v1, vcc
	s_waitcnt lgkmcnt(0)
	global_store_dwordx2 v[0:1], v[2:3], off offset:2624
.LBB0_24:
	s_endpgm
	.section	.rodata,"a",@progbits
	.p2align	6, 0x0
	.amdhsa_kernel fft_rtc_fwd_len1352_factors_2_13_13_4_wgs_52_tpt_52_halfLds_sp_op_CI_CI_unitstride_sbrr_R2C_dirReg
		.amdhsa_group_segment_fixed_size 0
		.amdhsa_private_segment_fixed_size 0
		.amdhsa_kernarg_size 104
		.amdhsa_user_sgpr_count 2
		.amdhsa_user_sgpr_dispatch_ptr 0
		.amdhsa_user_sgpr_queue_ptr 0
		.amdhsa_user_sgpr_kernarg_segment_ptr 1
		.amdhsa_user_sgpr_dispatch_id 0
		.amdhsa_user_sgpr_kernarg_preload_length 0
		.amdhsa_user_sgpr_kernarg_preload_offset 0
		.amdhsa_user_sgpr_private_segment_size 0
		.amdhsa_uses_dynamic_stack 0
		.amdhsa_enable_private_segment 0
		.amdhsa_system_sgpr_workgroup_id_x 1
		.amdhsa_system_sgpr_workgroup_id_y 0
		.amdhsa_system_sgpr_workgroup_id_z 0
		.amdhsa_system_sgpr_workgroup_info 0
		.amdhsa_system_vgpr_workitem_id 0
		.amdhsa_next_free_vgpr 252
		.amdhsa_next_free_sgpr 60
		.amdhsa_accum_offset 252
		.amdhsa_reserve_vcc 1
		.amdhsa_float_round_mode_32 0
		.amdhsa_float_round_mode_16_64 0
		.amdhsa_float_denorm_mode_32 3
		.amdhsa_float_denorm_mode_16_64 3
		.amdhsa_dx10_clamp 1
		.amdhsa_ieee_mode 1
		.amdhsa_fp16_overflow 0
		.amdhsa_tg_split 0
		.amdhsa_exception_fp_ieee_invalid_op 0
		.amdhsa_exception_fp_denorm_src 0
		.amdhsa_exception_fp_ieee_div_zero 0
		.amdhsa_exception_fp_ieee_overflow 0
		.amdhsa_exception_fp_ieee_underflow 0
		.amdhsa_exception_fp_ieee_inexact 0
		.amdhsa_exception_int_div_zero 0
	.end_amdhsa_kernel
	.text
.Lfunc_end0:
	.size	fft_rtc_fwd_len1352_factors_2_13_13_4_wgs_52_tpt_52_halfLds_sp_op_CI_CI_unitstride_sbrr_R2C_dirReg, .Lfunc_end0-fft_rtc_fwd_len1352_factors_2_13_13_4_wgs_52_tpt_52_halfLds_sp_op_CI_CI_unitstride_sbrr_R2C_dirReg
                                        ; -- End function
	.section	.AMDGPU.csdata,"",@progbits
; Kernel info:
; codeLenInByte = 19964
; NumSgprs: 66
; NumVgprs: 252
; NumAgprs: 0
; TotalNumVgprs: 252
; ScratchSize: 0
; MemoryBound: 0
; FloatMode: 240
; IeeeMode: 1
; LDSByteSize: 0 bytes/workgroup (compile time only)
; SGPRBlocks: 8
; VGPRBlocks: 31
; NumSGPRsForWavesPerEU: 66
; NumVGPRsForWavesPerEU: 252
; AccumOffset: 252
; Occupancy: 2
; WaveLimiterHint : 1
; COMPUTE_PGM_RSRC2:SCRATCH_EN: 0
; COMPUTE_PGM_RSRC2:USER_SGPR: 2
; COMPUTE_PGM_RSRC2:TRAP_HANDLER: 0
; COMPUTE_PGM_RSRC2:TGID_X_EN: 1
; COMPUTE_PGM_RSRC2:TGID_Y_EN: 0
; COMPUTE_PGM_RSRC2:TGID_Z_EN: 0
; COMPUTE_PGM_RSRC2:TIDIG_COMP_CNT: 0
; COMPUTE_PGM_RSRC3_GFX90A:ACCUM_OFFSET: 62
; COMPUTE_PGM_RSRC3_GFX90A:TG_SPLIT: 0
	.text
	.p2alignl 6, 3212836864
	.fill 256, 4, 3212836864
	.type	__hip_cuid_c958173714617007,@object ; @__hip_cuid_c958173714617007
	.section	.bss,"aw",@nobits
	.globl	__hip_cuid_c958173714617007
__hip_cuid_c958173714617007:
	.byte	0                               ; 0x0
	.size	__hip_cuid_c958173714617007, 1

	.ident	"AMD clang version 19.0.0git (https://github.com/RadeonOpenCompute/llvm-project roc-6.4.0 25133 c7fe45cf4b819c5991fe208aaa96edf142730f1d)"
	.section	".note.GNU-stack","",@progbits
	.addrsig
	.addrsig_sym __hip_cuid_c958173714617007
	.amdgpu_metadata
---
amdhsa.kernels:
  - .agpr_count:     0
    .args:
      - .actual_access:  read_only
        .address_space:  global
        .offset:         0
        .size:           8
        .value_kind:     global_buffer
      - .offset:         8
        .size:           8
        .value_kind:     by_value
      - .actual_access:  read_only
        .address_space:  global
        .offset:         16
        .size:           8
        .value_kind:     global_buffer
      - .actual_access:  read_only
        .address_space:  global
        .offset:         24
        .size:           8
        .value_kind:     global_buffer
      - .actual_access:  read_only
        .address_space:  global
        .offset:         32
        .size:           8
        .value_kind:     global_buffer
      - .offset:         40
        .size:           8
        .value_kind:     by_value
      - .actual_access:  read_only
        .address_space:  global
        .offset:         48
        .size:           8
        .value_kind:     global_buffer
      - .actual_access:  read_only
        .address_space:  global
        .offset:         56
        .size:           8
        .value_kind:     global_buffer
      - .offset:         64
        .size:           4
        .value_kind:     by_value
      - .actual_access:  read_only
        .address_space:  global
        .offset:         72
        .size:           8
        .value_kind:     global_buffer
      - .actual_access:  read_only
        .address_space:  global
        .offset:         80
        .size:           8
        .value_kind:     global_buffer
      - .actual_access:  read_only
        .address_space:  global
        .offset:         88
        .size:           8
        .value_kind:     global_buffer
      - .actual_access:  write_only
        .address_space:  global
        .offset:         96
        .size:           8
        .value_kind:     global_buffer
    .group_segment_fixed_size: 0
    .kernarg_segment_align: 8
    .kernarg_segment_size: 104
    .language:       OpenCL C
    .language_version:
      - 2
      - 0
    .max_flat_workgroup_size: 52
    .name:           fft_rtc_fwd_len1352_factors_2_13_13_4_wgs_52_tpt_52_halfLds_sp_op_CI_CI_unitstride_sbrr_R2C_dirReg
    .private_segment_fixed_size: 0
    .sgpr_count:     66
    .sgpr_spill_count: 0
    .symbol:         fft_rtc_fwd_len1352_factors_2_13_13_4_wgs_52_tpt_52_halfLds_sp_op_CI_CI_unitstride_sbrr_R2C_dirReg.kd
    .uniform_work_group_size: 1
    .uses_dynamic_stack: false
    .vgpr_count:     252
    .vgpr_spill_count: 0
    .wavefront_size: 64
amdhsa.target:   amdgcn-amd-amdhsa--gfx950
amdhsa.version:
  - 1
  - 2
...

	.end_amdgpu_metadata
